;; amdgpu-corpus repo=ROCm/rocFFT kind=compiled arch=gfx950 opt=O3
	.text
	.amdgcn_target "amdgcn-amd-amdhsa--gfx950"
	.amdhsa_code_object_version 6
	.protected	bluestein_single_fwd_len1950_dim1_sp_op_CI_CI ; -- Begin function bluestein_single_fwd_len1950_dim1_sp_op_CI_CI
	.globl	bluestein_single_fwd_len1950_dim1_sp_op_CI_CI
	.p2align	8
	.type	bluestein_single_fwd_len1950_dim1_sp_op_CI_CI,@function
bluestein_single_fwd_len1950_dim1_sp_op_CI_CI: ; @bluestein_single_fwd_len1950_dim1_sp_op_CI_CI
; %bb.0:
	s_load_dwordx4 s[4:7], s[0:1], 0x28
	v_mul_u32_u24_e32 v1, 0x151, v0
	v_mov_b32_e32 v75, 0
	v_add_u32_sdwa v76, s2, v1 dst_sel:DWORD dst_unused:UNUSED_PAD src0_sel:DWORD src1_sel:WORD_1
	v_mov_b32_e32 v77, v75
	s_waitcnt lgkmcnt(0)
	v_cmp_gt_u64_e32 vcc, s[4:5], v[76:77]
	s_and_saveexec_b64 s[2:3], vcc
	s_cbranch_execz .LBB0_23
; %bb.1:
	s_load_dwordx2 s[12:13], s[0:1], 0x0
	s_load_dwordx2 s[14:15], s[0:1], 0x38
	s_movk_i32 s2, 0xc3
	v_mul_lo_u16_sdwa v1, v1, s2 dst_sel:DWORD dst_unused:UNUSED_PAD src0_sel:WORD_1 src1_sel:DWORD
	v_sub_u16_e32 v74, v0, v1
	s_movk_i32 s2, 0x96
	v_cmp_gt_u16_e64 s[4:5], s2, v74
	v_lshlrev_b32_e32 v72, 3, v74
	s_and_saveexec_b64 s[2:3], s[4:5]
	s_cbranch_execz .LBB0_3
; %bb.2:
	s_load_dwordx2 s[8:9], s[0:1], 0x18
	v_mov_b32_e32 v0, s6
	v_mov_b32_e32 v1, s7
	;; [unrolled: 1-line block ×4, first 2 shown]
	s_waitcnt lgkmcnt(0)
	s_load_dwordx4 s[8:11], s[8:9], 0x0
	s_waitcnt lgkmcnt(0)
	v_mad_u64_u32 v[2:3], s[6:7], s10, v76, 0
	v_mad_u64_u32 v[4:5], s[6:7], s8, v74, 0
	v_mov_b32_e32 v6, v3
	v_mov_b32_e32 v8, v5
	v_mad_u64_u32 v[6:7], s[6:7], s11, v76, v[6:7]
	v_mov_b32_e32 v3, v6
	v_mad_u64_u32 v[6:7], s[6:7], s9, v74, v[8:9]
	v_mov_b32_e32 v5, v6
	v_lshl_add_u64 v[0:1], v[2:3], 3, v[0:1]
	v_lshl_add_u64 v[0:1], v[4:5], 3, v[0:1]
	global_load_dwordx2 v[2:3], v[0:1], off
	v_mad_u64_u32 v[0:1], s[6:7], s8, v52, v[0:1]
	s_mulk_i32 s9, 0x4b0
	v_add_u32_e32 v1, s9, v1
	v_mad_u64_u32 v[6:7], s[6:7], s8, v52, v[0:1]
	v_add_u32_e32 v7, s9, v7
	v_mad_u64_u32 v[14:15], s[6:7], s8, v52, v[6:7]
	;; [unrolled: 2-line block ×3, first 2 shown]
	v_lshl_add_u64 v[4:5], s[12:13], 0, v[72:73]
	v_add_u32_e32 v19, s9, v19
	s_movk_i32 s6, 0x1000
	global_load_dwordx2 v[8:9], v72, s[12:13]
	global_load_dwordx2 v[10:11], v72, s[12:13] offset:1200
	global_load_dwordx2 v[12:13], v72, s[12:13] offset:2400
	;; [unrolled: 1-line block ×3, first 2 shown]
	global_load_dwordx2 v[20:21], v[0:1], off
	global_load_dwordx2 v[22:23], v[6:7], off
	global_load_dwordx2 v[24:25], v[14:15], off
	global_load_dwordx2 v[26:27], v[18:19], off
	v_add_co_u32_e32 v0, vcc, s6, v4
	v_mad_u64_u32 v[6:7], s[6:7], s8, v52, v[18:19]
	v_add_u32_e32 v7, s9, v7
	v_addc_co_u32_e32 v1, vcc, 0, v5, vcc
	global_load_dwordx2 v[14:15], v[6:7], off
	global_load_dwordx2 v[18:19], v[0:1], off offset:704
	global_load_dwordx2 v[28:29], v[0:1], off offset:1904
	v_mad_u64_u32 v[6:7], s[6:7], s8, v52, v[6:7]
	v_add_u32_e32 v7, s9, v7
	global_load_dwordx2 v[30:31], v[6:7], off
	v_mad_u64_u32 v[6:7], s[6:7], s8, v52, v[6:7]
	s_movk_i32 s6, 0x2000
	v_add_u32_e32 v7, s9, v7
	v_add_co_u32_e32 v34, vcc, s6, v4
	global_load_dwordx2 v[32:33], v[6:7], off
	s_nop 0
	v_addc_co_u32_e32 v35, vcc, 0, v5, vcc
	global_load_dwordx2 v[36:37], v[0:1], off offset:3104
	global_load_dwordx2 v[38:39], v[34:35], off offset:208
	v_mad_u64_u32 v[0:1], s[6:7], s8, v52, v[6:7]
	v_add_u32_e32 v1, s9, v1
	global_load_dwordx2 v[6:7], v[0:1], off
	v_mad_u64_u32 v[0:1], s[6:7], s8, v52, v[0:1]
	v_add_u32_e32 v1, s9, v1
	global_load_dwordx2 v[40:41], v[0:1], off
	v_mad_u64_u32 v[0:1], s[6:7], s8, v52, v[0:1]
	v_add_u32_e32 v1, s9, v1
	global_load_dwordx2 v[42:43], v[34:35], off offset:1408
	global_load_dwordx2 v[44:45], v[0:1], off
	global_load_dwordx2 v[46:47], v[34:35], off offset:2608
	global_load_dwordx2 v[48:49], v[34:35], off offset:3808
	v_mad_u64_u32 v[0:1], s[6:7], s8, v52, v[0:1]
	s_movk_i32 s6, 0x3000
	s_nop 0
	v_add_co_u32_e32 v4, vcc, s6, v4
	v_add_u32_e32 v1, s9, v1
	s_nop 0
	v_addc_co_u32_e32 v5, vcc, 0, v5, vcc
	global_load_dwordx2 v[34:35], v[0:1], off
	global_load_dwordx2 v[50:51], v[4:5], off offset:912
	v_mad_u64_u32 v[0:1], s[6:7], s8, v52, v[0:1]
	v_add_u32_e32 v1, s9, v1
	global_load_dwordx2 v[52:53], v[0:1], off
	global_load_dwordx2 v[54:55], v[4:5], off offset:2112
	v_add_u32_e32 v4, 0x800, v72
	s_waitcnt vmcnt(24)
	v_mul_f32_e32 v0, v2, v9
	v_fma_f32 v1, v3, v8, -v0
	v_mul_f32_e32 v0, v3, v9
	v_fmac_f32_e32 v0, v2, v8
	s_waitcnt vmcnt(20)
	v_mul_f32_e32 v2, v21, v11
	v_mul_f32_e32 v3, v20, v11
	v_fmac_f32_e32 v2, v20, v10
	v_fma_f32 v3, v21, v10, -v3
	ds_write2_b64 v72, v[0:1], v[2:3] offset1:150
	s_waitcnt vmcnt(19)
	v_mul_f32_e32 v0, v23, v13
	v_mul_f32_e32 v1, v22, v13
	s_waitcnt vmcnt(18)
	v_mul_f32_e32 v2, v25, v17
	v_mul_f32_e32 v3, v24, v17
	v_fmac_f32_e32 v0, v22, v12
	v_fma_f32 v1, v23, v12, -v1
	v_fmac_f32_e32 v2, v24, v16
	v_fma_f32 v3, v25, v16, -v3
	ds_write2_b64 v4, v[0:1], v[2:3] offset0:44 offset1:194
	s_waitcnt vmcnt(15)
	v_mul_f32_e32 v0, v27, v19
	v_mul_f32_e32 v1, v26, v19
	s_waitcnt vmcnt(14)
	v_mul_f32_e32 v2, v15, v29
	v_mul_f32_e32 v3, v14, v29
	v_fmac_f32_e32 v0, v26, v18
	v_fma_f32 v1, v27, v18, -v1
	v_fmac_f32_e32 v2, v14, v28
	v_fma_f32 v3, v15, v28, -v3
	v_add_u32_e32 v4, 0x1000, v72
	ds_write2_b64 v4, v[0:1], v[2:3] offset0:88 offset1:238
	s_waitcnt vmcnt(11)
	v_mul_f32_e32 v0, v31, v37
	v_mul_f32_e32 v1, v30, v37
	s_waitcnt vmcnt(10)
	v_mul_f32_e32 v2, v33, v39
	v_mul_f32_e32 v3, v32, v39
	v_fmac_f32_e32 v0, v30, v36
	v_fma_f32 v1, v31, v36, -v1
	v_fmac_f32_e32 v2, v32, v38
	v_fma_f32 v3, v33, v38, -v3
	v_add_u32_e32 v4, 0x1c00, v72
	;; [unrolled: 12-line block ×4, first 2 shown]
	ds_write2_b64 v4, v[0:1], v[2:3] offset0:92 offset1:242
	s_waitcnt vmcnt(0)
	v_mul_f32_e32 v0, v53, v55
	v_mul_f32_e32 v1, v52, v55
	v_fmac_f32_e32 v0, v52, v54
	v_fma_f32 v1, v53, v54, -v1
	ds_write_b64 v72, v[0:1] offset:14400
.LBB0_3:
	s_or_b64 exec, exec, s[2:3]
	s_load_dwordx2 s[2:3], s[0:1], 0x20
	s_load_dwordx2 s[6:7], s[0:1], 0x8
	v_mov_b64_e32 v[0:1], 0
	s_waitcnt lgkmcnt(0)
	s_barrier
	s_waitcnt lgkmcnt(0)
                                        ; implicit-def: $vgpr6
                                        ; implicit-def: $vgpr12
                                        ; implicit-def: $vgpr10
                                        ; implicit-def: $vgpr20
                                        ; implicit-def: $vgpr18
                                        ; implicit-def: $vgpr48
	s_and_saveexec_b64 s[0:1], s[4:5]
	s_cbranch_execz .LBB0_5
; %bb.4:
	v_add_u32_e32 v4, 0x800, v72
	ds_read2_b64 v[16:19], v4 offset0:44 offset1:194
	v_add_u32_e32 v4, 0x1000, v72
	ds_read2_b64 v[8:11], v4 offset0:88 offset1:238
	v_add_u32_e32 v4, 0x1c00, v72
	v_add_u32_e32 v12, 0x2400, v72
	;; [unrolled: 1-line block ×3, first 2 shown]
	ds_read2_b64 v[0:3], v72 offset1:150
	ds_read2_b64 v[4:7], v4 offset0:4 offset1:154
	ds_read2_b64 v[12:15], v12 offset0:48 offset1:198
	;; [unrolled: 1-line block ×3, first 2 shown]
	ds_read_b64 v[48:49], v72 offset:14400
.LBB0_5:
	s_or_b64 exec, exec, s[0:1]
	s_waitcnt lgkmcnt(0)
	v_pk_add_f32 v[38:39], v[2:3], v[48:49] neg_lo:[0,1] neg_hi:[0,1]
	s_mov_b32 s0, 0xbeedf032
	v_pk_add_f32 v[36:37], v[48:49], v[2:3]
	v_pk_add_f32 v[34:35], v[16:17], v[22:23] neg_lo:[0,1] neg_hi:[0,1]
	s_mov_b32 s10, 0x3f62ad3f
	v_pk_mul_f32 v[40:41], v[38:39], s[0:1] op_sel_hi:[1,0]
	s_mov_b32 s24, 0xbf52af12
	v_pk_add_f32 v[32:33], v[22:23], v[16:17]
	v_pk_fma_f32 v[50:51], v[36:37], s[10:11], v[40:41] op_sel:[0,0,1] op_sel_hi:[1,0,0]
	v_pk_fma_f32 v[54:55], v[36:37], s[10:11], v[40:41] op_sel:[0,0,1] op_sel_hi:[1,0,0] neg_lo:[0,0,1] neg_hi:[0,0,1]
	s_mov_b32 s8, 0x3f116cb1
	v_pk_mul_f32 v[42:43], v[34:35], s[24:25] op_sel_hi:[1,0]
	v_mov_b32_e32 v40, v50
	v_mov_b32_e32 v41, v55
	v_pk_fma_f32 v[56:57], v[32:33], s[8:9], v[42:43] op_sel:[0,0,1] op_sel_hi:[1,0,0]
	v_pk_fma_f32 v[58:59], v[32:33], s[8:9], v[42:43] op_sel:[0,0,1] op_sel_hi:[1,0,0] neg_lo:[0,0,1] neg_hi:[0,0,1]
	v_pk_add_f32 v[30:31], v[18:19], v[20:21] neg_lo:[0,1] neg_hi:[0,1]
	v_pk_add_f32 v[40:41], v[40:41], v[0:1]
	v_mov_b32_e32 v42, v56
	v_mov_b32_e32 v43, v59
	s_mov_b32 s36, 0xbf7e222b
	v_pk_add_f32 v[28:29], v[20:21], v[18:19]
	v_pk_add_f32 v[40:41], v[42:43], v[40:41]
	s_mov_b32 s0, 0x3df6dbef
	v_pk_mul_f32 v[42:43], v[30:31], s[36:37] op_sel_hi:[1,0]
	v_pk_add_f32 v[26:27], v[8:9], v[14:15] neg_lo:[0,1] neg_hi:[0,1]
	v_pk_fma_f32 v[60:61], v[28:29], s[0:1], v[42:43] op_sel:[0,0,1] op_sel_hi:[1,0,0]
	v_pk_fma_f32 v[64:65], v[28:29], s[0:1], v[42:43] op_sel:[0,0,1] op_sel_hi:[1,0,0] neg_lo:[0,0,1] neg_hi:[0,0,1]
	v_mov_b32_e32 v42, v60
	v_mov_b32_e32 v43, v65
	s_mov_b32 s18, 0xbf6f5d39
	v_pk_add_f32 v[24:25], v[14:15], v[8:9]
	v_pk_add_f32 v[40:41], v[42:43], v[40:41]
	s_mov_b32 s16, 0xbeb58ec6
	v_pk_mul_f32 v[42:43], v[26:27], s[18:19] op_sel_hi:[1,0]
	s_mov_b32 s22, 0xbf29c268
	v_pk_fma_f32 v[66:67], v[24:25], s[16:17], v[42:43] op_sel:[0,0,1] op_sel_hi:[1,0,0]
	v_pk_fma_f32 v[68:69], v[24:25], s[16:17], v[42:43] op_sel:[0,0,1] op_sel_hi:[1,0,0] neg_lo:[0,0,1] neg_hi:[0,0,1]
	v_mov_b32_e32 v42, v66
	v_mov_b32_e32 v43, v69
	v_pk_add_f32 v[44:45], v[42:43], v[40:41]
	v_pk_add_f32 v[42:43], v[10:11], v[12:13] neg_lo:[0,1] neg_hi:[0,1]
	s_mov_b32 s20, 0xbf3f9e67
	v_pk_add_f32 v[40:41], v[12:13], v[10:11]
	v_pk_mul_f32 v[46:47], v[42:43], s[22:23] op_sel_hi:[1,0]
	s_mov_b32 s28, 0xbe750f2a
	v_pk_fma_f32 v[70:71], v[40:41], s[20:21], v[46:47] op_sel:[0,0,1] op_sel_hi:[1,0,0]
	v_pk_fma_f32 v[80:81], v[40:41], s[20:21], v[46:47] op_sel:[0,0,1] op_sel_hi:[1,0,0] neg_lo:[0,0,1] neg_hi:[0,0,1]
	v_mov_b32_e32 v46, v70
	v_mov_b32_e32 v47, v81
	v_pk_add_f32 v[52:53], v[46:47], v[44:45]
	v_pk_add_f32 v[46:47], v[4:5], v[6:7] neg_lo:[0,1] neg_hi:[0,1]
	s_mov_b32 s26, 0xbf788fa5
	v_pk_add_f32 v[44:45], v[6:7], v[4:5]
	v_pk_mul_f32 v[62:63], v[46:47], s[28:29] op_sel_hi:[1,0]
	s_mov_b32 s40, 0x3f29c268
	v_pk_fma_f32 v[90:91], v[44:45], s[26:27], v[62:63] op_sel:[0,0,1] op_sel_hi:[1,0,0]
	v_pk_fma_f32 v[92:93], v[44:45], s[26:27], v[62:63] op_sel:[0,0,1] op_sel_hi:[1,0,0] neg_lo:[0,0,1] neg_hi:[0,0,1]
	v_mov_b32_e32 v62, v90
	v_mov_b32_e32 v63, v93
	v_pk_add_f32 v[78:79], v[62:63], v[52:53]
	v_pk_mul_f32 v[52:53], v[38:39], s[24:25] op_sel_hi:[1,0]
	v_pk_mul_f32 v[62:63], v[34:35], s[18:19] op_sel_hi:[1,0]
	v_pk_fma_f32 v[82:83], v[36:37], s[8:9], v[52:53] op_sel:[0,0,1] op_sel_hi:[1,0,0]
	v_pk_fma_f32 v[84:85], v[36:37], s[8:9], v[52:53] op_sel:[0,0,1] op_sel_hi:[1,0,0] neg_lo:[0,0,1] neg_hi:[0,0,1]
	v_mov_b32_e32 v52, v82
	v_mov_b32_e32 v53, v85
	v_pk_fma_f32 v[86:87], v[32:33], s[16:17], v[62:63] op_sel:[0,0,1] op_sel_hi:[1,0,0]
	v_pk_fma_f32 v[88:89], v[32:33], s[16:17], v[62:63] op_sel:[0,0,1] op_sel_hi:[1,0,0] neg_lo:[0,0,1] neg_hi:[0,0,1]
	v_mov_b32_e32 v62, v86
	v_mov_b32_e32 v63, v89
	v_pk_add_f32 v[52:53], v[52:53], v[0:1]
	s_mov_b32 s34, 0x3f7e222b
	v_pk_add_f32 v[52:53], v[62:63], v[52:53]
	v_pk_mul_f32 v[62:63], v[30:31], s[28:29] op_sel_hi:[1,0]
	s_mov_b32 s38, 0x3eedf032
	v_pk_fma_f32 v[94:95], v[28:29], s[26:27], v[62:63] op_sel:[0,0,1] op_sel_hi:[1,0,0]
	v_pk_fma_f32 v[96:97], v[28:29], s[26:27], v[62:63] op_sel:[0,0,1] op_sel_hi:[1,0,0] neg_lo:[0,0,1] neg_hi:[0,0,1]
	v_mov_b32_e32 v62, v94
	v_mov_b32_e32 v63, v97
	v_pk_add_f32 v[52:53], v[62:63], v[52:53]
	v_pk_mul_f32 v[62:63], v[26:27], s[40:41] op_sel_hi:[1,0]
	v_pk_mul_f32 v[116:117], v[34:35], s[28:29] op_sel_hi:[1,0]
	v_pk_fma_f32 v[98:99], v[24:25], s[20:21], v[62:63] op_sel:[0,0,1] op_sel_hi:[1,0,0]
	v_pk_fma_f32 v[100:101], v[24:25], s[20:21], v[62:63] op_sel:[0,0,1] op_sel_hi:[1,0,0] neg_lo:[0,0,1] neg_hi:[0,0,1]
	v_mov_b32_e32 v62, v98
	v_mov_b32_e32 v63, v101
	v_pk_add_f32 v[52:53], v[62:63], v[52:53]
	v_pk_mul_f32 v[62:63], v[42:43], s[34:35] op_sel_hi:[1,0]
	v_pk_fma_f32 v[114:115], v[32:33], s[26:27], v[116:117] op_sel:[0,0,1] op_sel_hi:[1,0,0]
	v_pk_fma_f32 v[102:103], v[40:41], s[0:1], v[62:63] op_sel:[0,0,1] op_sel_hi:[1,0,0]
	v_pk_fma_f32 v[104:105], v[40:41], s[0:1], v[62:63] op_sel:[0,0,1] op_sel_hi:[1,0,0] neg_lo:[0,0,1] neg_hi:[0,0,1]
	v_mov_b32_e32 v62, v102
	v_mov_b32_e32 v63, v105
	v_pk_add_f32 v[52:53], v[62:63], v[52:53]
	v_pk_mul_f32 v[62:63], v[46:47], s[38:39] op_sel_hi:[1,0]
	v_pk_fma_f32 v[116:117], v[32:33], s[26:27], v[116:117] op_sel:[0,0,1] op_sel_hi:[1,0,0] neg_lo:[0,0,1] neg_hi:[0,0,1]
	v_pk_fma_f32 v[106:107], v[44:45], s[10:11], v[62:63] op_sel:[0,0,1] op_sel_hi:[1,0,0]
	v_pk_fma_f32 v[108:109], v[44:45], s[10:11], v[62:63] op_sel:[0,0,1] op_sel_hi:[1,0,0] neg_lo:[0,0,1] neg_hi:[0,0,1]
	v_mov_b32_e32 v62, v106
	v_mov_b32_e32 v63, v109
	v_pk_add_f32 v[52:53], v[62:63], v[52:53]
	v_pk_mul_f32 v[62:63], v[38:39], s[36:37] op_sel_hi:[1,0]
	s_mov_b32 s30, 0x3f6f5d39
	v_pk_fma_f32 v[110:111], v[36:37], s[0:1], v[62:63] op_sel:[0,0,1] op_sel_hi:[1,0,0]
	v_pk_fma_f32 v[112:113], v[36:37], s[0:1], v[62:63] op_sel:[0,0,1] op_sel_hi:[1,0,0] neg_lo:[0,0,1] neg_hi:[0,0,1]
	v_mov_b32_e32 v62, v110
	v_mov_b32_e32 v63, v113
	;; [unrolled: 1-line block ×4, first 2 shown]
	v_pk_add_f32 v[62:63], v[62:63], v[0:1]
	v_pk_mul_f32 v[120:121], v[30:31], s[30:31] op_sel_hi:[1,0]
	v_pk_add_f32 v[62:63], v[118:119], v[62:63]
	v_pk_fma_f32 v[118:119], v[28:29], s[16:17], v[120:121] op_sel:[0,0,1] op_sel_hi:[1,0,0]
	v_pk_fma_f32 v[120:121], v[28:29], s[16:17], v[120:121] op_sel:[0,0,1] op_sel_hi:[1,0,0] neg_lo:[0,0,1] neg_hi:[0,0,1]
	v_mov_b32_e32 v122, v118
	v_mov_b32_e32 v123, v121
	v_pk_mul_f32 v[124:125], v[26:27], s[38:39] op_sel_hi:[1,0]
	v_pk_add_f32 v[62:63], v[122:123], v[62:63]
	v_pk_fma_f32 v[122:123], v[24:25], s[10:11], v[124:125] op_sel:[0,0,1] op_sel_hi:[1,0,0]
	v_pk_fma_f32 v[124:125], v[24:25], s[10:11], v[124:125] op_sel:[0,0,1] op_sel_hi:[1,0,0] neg_lo:[0,0,1] neg_hi:[0,0,1]
	v_mov_b32_e32 v126, v122
	v_mov_b32_e32 v127, v125
	;; [unrolled: 6-line block ×4, first 2 shown]
	v_pk_add_f32 v[62:63], v[134:135], v[62:63]
	v_mul_lo_u16_e32 v195, 13, v74
	s_barrier
	s_and_saveexec_b64 s[30:31], s[4:5]
	s_cbranch_execz .LBB0_7
; %bb.6:
	v_pk_add_f32 v[2:3], v[2:3], v[0:1]
	v_mov_b32_e32 v55, v51
	v_pk_add_f32 v[2:3], v[16:17], v[2:3]
	v_mov_b32_e32 v59, v57
	;; [unrolled: 2-line block ×5, first 2 shown]
	v_pk_add_f32 v[2:3], v[4:5], v[2:3]
	v_pk_add_f32 v[4:5], v[54:55], v[0:1]
	;; [unrolled: 1-line block ×11, first 2 shown]
	v_mov_b32_e32 v93, v91
	v_lshlrev_b32_e32 v73, 3, v195
	v_pk_add_f32 v[2:3], v[48:49], v[2:3]
	v_pk_add_f32 v[4:5], v[92:93], v[4:5]
	v_mov_b32_e32 v85, v83
	v_mov_b32_e32 v113, v111
	ds_write2_b64 v73, v[2:3], v[4:5] offset1:1
	v_pk_add_f32 v[2:3], v[84:85], v[0:1]
	v_mov_b32_e32 v89, v87
	v_pk_add_f32 v[4:5], v[112:113], v[0:1]
	v_mov_b32_e32 v117, v115
	;; [unrolled: 2-line block ×10, first 2 shown]
	v_pk_add_f32 v[2:3], v[108:109], v[2:3]
	v_pk_add_f32 v[4:5], v[132:133], v[4:5]
	ds_write2_b64 v73, v[2:3], v[4:5] offset0:2 offset1:3
	v_pk_mul_f32 v[2:3], v[38:39], s[18:19] op_sel_hi:[1,0]
	v_pk_mul_f32 v[8:9], v[34:35], s[40:41] op_sel_hi:[1,0]
	v_pk_fma_f32 v[4:5], v[36:37], s[16:17], v[2:3] op_sel:[0,0,1] op_sel_hi:[1,0,0] neg_lo:[0,0,1] neg_hi:[0,0,1]
	v_pk_fma_f32 v[2:3], v[36:37], s[16:17], v[2:3] op_sel:[0,0,1] op_sel_hi:[1,0,0]
	v_mov_b32_e32 v6, v4
	v_mov_b32_e32 v7, v3
	v_pk_fma_f32 v[10:11], v[32:33], s[20:21], v[8:9] op_sel:[0,0,1] op_sel_hi:[1,0,0] neg_lo:[0,0,1] neg_hi:[0,0,1]
	v_pk_fma_f32 v[8:9], v[32:33], s[20:21], v[8:9] op_sel:[0,0,1] op_sel_hi:[1,0,0]
	v_pk_add_f32 v[6:7], v[6:7], v[0:1]
	v_mov_b32_e32 v12, v10
	v_mov_b32_e32 v13, v9
	v_pk_add_f32 v[6:7], v[12:13], v[6:7]
	v_pk_mul_f32 v[12:13], v[30:31], s[38:39] op_sel_hi:[1,0]
	s_mov_b32 s40, 0x3f52af12
	v_pk_fma_f32 v[14:15], v[28:29], s[10:11], v[12:13] op_sel:[0,0,1] op_sel_hi:[1,0,0] neg_lo:[0,0,1] neg_hi:[0,0,1]
	v_pk_fma_f32 v[12:13], v[28:29], s[10:11], v[12:13] op_sel:[0,0,1] op_sel_hi:[1,0,0]
	v_mov_b32_e32 v16, v14
	v_mov_b32_e32 v17, v13
	v_pk_add_f32 v[6:7], v[16:17], v[6:7]
	v_pk_mul_f32 v[16:17], v[26:27], s[36:37] op_sel_hi:[1,0]
	s_mov_b32 s36, 0x3e750f2a
	v_pk_fma_f32 v[18:19], v[24:25], s[0:1], v[16:17] op_sel:[0,0,1] op_sel_hi:[1,0,0] neg_lo:[0,0,1] neg_hi:[0,0,1]
	v_pk_fma_f32 v[16:17], v[24:25], s[0:1], v[16:17] op_sel:[0,0,1] op_sel_hi:[1,0,0]
	v_mov_b32_e32 v20, v18
	v_mov_b32_e32 v21, v17
	v_pk_add_f32 v[6:7], v[20:21], v[6:7]
	v_pk_mul_f32 v[20:21], v[42:43], s[36:37] op_sel_hi:[1,0]
	v_pk_mul_f32 v[60:61], v[34:35], s[34:35] op_sel_hi:[1,0]
	v_pk_fma_f32 v[22:23], v[40:41], s[26:27], v[20:21] op_sel:[0,0,1] op_sel_hi:[1,0,0] neg_lo:[0,0,1] neg_hi:[0,0,1]
	v_pk_fma_f32 v[20:21], v[40:41], s[26:27], v[20:21] op_sel:[0,0,1] op_sel_hi:[1,0,0]
	v_mov_b32_e32 v48, v22
	v_mov_b32_e32 v49, v21
	v_pk_add_f32 v[6:7], v[48:49], v[6:7]
	v_pk_mul_f32 v[48:49], v[46:47], s[40:41] op_sel_hi:[1,0]
	v_pk_fma_f32 v[64:65], v[32:33], s[0:1], v[60:61] op_sel:[0,0,1] op_sel_hi:[1,0,0] neg_lo:[0,0,1] neg_hi:[0,0,1]
	v_pk_fma_f32 v[50:51], v[44:45], s[8:9], v[48:49] op_sel:[0,0,1] op_sel_hi:[1,0,0] neg_lo:[0,0,1] neg_hi:[0,0,1]
	v_pk_fma_f32 v[48:49], v[44:45], s[8:9], v[48:49] op_sel:[0,0,1] op_sel_hi:[1,0,0]
	v_mov_b32_e32 v54, v50
	v_mov_b32_e32 v55, v49
	v_pk_add_f32 v[6:7], v[54:55], v[6:7]
	v_pk_mul_f32 v[54:55], v[38:39], s[22:23] op_sel_hi:[1,0]
	v_pk_fma_f32 v[60:61], v[32:33], s[0:1], v[60:61] op_sel:[0,0,1] op_sel_hi:[1,0,0]
	v_pk_fma_f32 v[56:57], v[36:37], s[20:21], v[54:55] op_sel:[0,0,1] op_sel_hi:[1,0,0] neg_lo:[0,0,1] neg_hi:[0,0,1]
	v_pk_fma_f32 v[54:55], v[36:37], s[20:21], v[54:55] op_sel:[0,0,1] op_sel_hi:[1,0,0]
	v_mov_b32_e32 v58, v56
	v_mov_b32_e32 v59, v55
	v_pk_add_f32 v[58:59], v[58:59], v[0:1]
	v_mov_b32_e32 v66, v64
	v_mov_b32_e32 v67, v61
	v_pk_add_f32 v[58:59], v[66:67], v[58:59]
	v_pk_mul_f32 v[66:67], v[30:31], s[24:25] op_sel_hi:[1,0]
	v_pk_mul_f32 v[34:35], v[34:35], s[38:39] op_sel_hi:[1,0]
	v_pk_fma_f32 v[68:69], v[28:29], s[8:9], v[66:67] op_sel:[0,0,1] op_sel_hi:[1,0,0] neg_lo:[0,0,1] neg_hi:[0,0,1]
	v_pk_fma_f32 v[66:67], v[28:29], s[8:9], v[66:67] op_sel:[0,0,1] op_sel_hi:[1,0,0]
	v_mov_b32_e32 v70, v68
	v_mov_b32_e32 v71, v67
	v_pk_add_f32 v[58:59], v[70:71], v[58:59]
	v_pk_mul_f32 v[70:71], v[26:27], s[36:37] op_sel_hi:[1,0]
	v_pk_mul_f32 v[30:31], v[30:31], s[22:23] op_sel_hi:[1,0]
	v_pk_fma_f32 v[80:81], v[24:25], s[26:27], v[70:71] op_sel:[0,0,1] op_sel_hi:[1,0,0] neg_lo:[0,0,1] neg_hi:[0,0,1]
	v_pk_fma_f32 v[70:71], v[24:25], s[26:27], v[70:71] op_sel:[0,0,1] op_sel_hi:[1,0,0]
	;; [unrolled: 7-line block ×3, first 2 shown]
	v_mov_b32_e32 v86, v84
	v_mov_b32_e32 v87, v83
	v_pk_add_f32 v[58:59], v[86:87], v[58:59]
	v_pk_mul_f32 v[86:87], v[46:47], s[18:19] op_sel_hi:[1,0]
	v_mov_b32_e32 v55, v57
	v_pk_fma_f32 v[88:89], v[44:45], s[16:17], v[86:87] op_sel:[0,0,1] op_sel_hi:[1,0,0] neg_lo:[0,0,1] neg_hi:[0,0,1]
	v_pk_fma_f32 v[86:87], v[44:45], s[16:17], v[86:87] op_sel:[0,0,1] op_sel_hi:[1,0,0]
	v_mov_b32_e32 v90, v88
	v_mov_b32_e32 v91, v87
	v_pk_add_f32 v[58:59], v[90:91], v[58:59]
	ds_write2_b64 v73, v[6:7], v[58:59] offset0:4 offset1:5
	v_pk_mul_f32 v[6:7], v[38:39], s[28:29] op_sel_hi:[1,0]
	v_pk_fma_f32 v[58:59], v[32:33], s[10:11], v[34:35] op_sel:[0,0,1] op_sel_hi:[1,0,0] neg_lo:[0,0,1] neg_hi:[0,0,1]
	v_pk_fma_f32 v[38:39], v[36:37], s[26:27], v[6:7] op_sel:[0,0,1] op_sel_hi:[1,0,0] neg_lo:[0,0,1] neg_hi:[0,0,1]
	v_pk_fma_f32 v[6:7], v[36:37], s[26:27], v[6:7] op_sel:[0,0,1] op_sel_hi:[1,0,0]
	v_mov_b32_e32 v36, v38
	v_mov_b32_e32 v37, v7
	v_pk_fma_f32 v[32:33], v[32:33], s[10:11], v[34:35] op_sel:[0,0,1] op_sel_hi:[1,0,0]
	v_pk_add_f32 v[36:37], v[36:37], v[0:1]
	v_mov_b32_e32 v34, v58
	v_mov_b32_e32 v35, v33
	v_pk_add_f32 v[34:35], v[34:35], v[36:37]
	v_pk_fma_f32 v[36:37], v[28:29], s[20:21], v[30:31] op_sel:[0,0,1] op_sel_hi:[1,0,0] neg_lo:[0,0,1] neg_hi:[0,0,1]
	v_pk_fma_f32 v[28:29], v[28:29], s[20:21], v[30:31] op_sel:[0,0,1] op_sel_hi:[1,0,0]
	v_mov_b32_e32 v30, v36
	v_mov_b32_e32 v31, v29
	v_pk_add_f32 v[30:31], v[30:31], v[34:35]
	v_pk_fma_f32 v[34:35], v[24:25], s[8:9], v[26:27] op_sel:[0,0,1] op_sel_hi:[1,0,0] neg_lo:[0,0,1] neg_hi:[0,0,1]
	v_pk_fma_f32 v[24:25], v[24:25], s[8:9], v[26:27] op_sel:[0,0,1] op_sel_hi:[1,0,0]
	v_mov_b32_e32 v26, v34
	v_mov_b32_e32 v27, v25
	v_pk_add_f32 v[26:27], v[26:27], v[30:31]
	v_pk_mul_f32 v[30:31], v[42:43], s[18:19] op_sel_hi:[1,0]
	v_mov_b32_e32 v7, v39
	v_pk_fma_f32 v[42:43], v[40:41], s[16:17], v[30:31] op_sel:[0,0,1] op_sel_hi:[1,0,0] neg_lo:[0,0,1] neg_hi:[0,0,1]
	v_pk_fma_f32 v[30:31], v[40:41], s[16:17], v[30:31] op_sel:[0,0,1] op_sel_hi:[1,0,0]
	v_pk_add_f32 v[6:7], v[6:7], v[0:1]
	v_mov_b32_e32 v33, v59
	v_mov_b32_e32 v40, v42
	;; [unrolled: 1-line block ×3, first 2 shown]
	v_pk_add_f32 v[6:7], v[32:33], v[6:7]
	v_mov_b32_e32 v29, v37
	v_pk_add_f32 v[26:27], v[40:41], v[26:27]
	v_pk_mul_f32 v[40:41], v[46:47], s[34:35] op_sel_hi:[1,0]
	v_pk_add_f32 v[6:7], v[28:29], v[6:7]
	v_mov_b32_e32 v25, v35
	v_pk_fma_f32 v[46:47], v[44:45], s[0:1], v[40:41] op_sel:[0,0,1] op_sel_hi:[1,0,0] neg_lo:[0,0,1] neg_hi:[0,0,1]
	v_pk_fma_f32 v[40:41], v[44:45], s[0:1], v[40:41] op_sel:[0,0,1] op_sel_hi:[1,0,0]
	v_pk_add_f32 v[6:7], v[24:25], v[6:7]
	v_mov_b32_e32 v31, v43
	v_mov_b32_e32 v44, v46
	v_mov_b32_e32 v45, v41
	v_pk_add_f32 v[6:7], v[30:31], v[6:7]
	v_mov_b32_e32 v41, v47
	v_pk_add_f32 v[26:27], v[44:45], v[26:27]
	v_pk_add_f32 v[6:7], v[40:41], v[6:7]
	v_mov_b32_e32 v3, v5
	ds_write2_b64 v73, v[26:27], v[6:7] offset0:6 offset1:7
	v_pk_add_f32 v[6:7], v[54:55], v[0:1]
	v_mov_b32_e32 v61, v65
	v_pk_add_f32 v[0:1], v[2:3], v[0:1]
	v_mov_b32_e32 v9, v11
	;; [unrolled: 2-line block ×10, first 2 shown]
	v_pk_add_f32 v[6:7], v[86:87], v[6:7]
	v_pk_add_f32 v[0:1], v[48:49], v[0:1]
	ds_write2_b64 v73, v[6:7], v[0:1] offset0:8 offset1:9
	ds_write2_b64 v73, v[62:63], v[52:53] offset0:10 offset1:11
	ds_write_b64 v73, v[78:79] offset:96
.LBB0_7:
	s_or_b64 exec, exec, s[30:31]
	s_mov_b64 s[0:1], 0xc3
	v_lshl_add_u64 v[16:17], v[74:75], 0, s[0:1]
	s_movk_i32 s0, 0x4f
	v_mul_lo_u16_sdwa v0, v74, s0 dst_sel:DWORD dst_unused:UNUSED_PAD src0_sel:BYTE_0 src1_sel:DWORD
	v_lshrrev_b16_e32 v22, 10, v0
	v_mul_lo_u16_e32 v0, 13, v22
	v_sub_u16_e32 v0, v74, v0
	v_and_b32_e32 v38, 0xff, v0
	v_lshlrev_b32_e32 v8, 5, v38
	s_movk_i32 s0, 0x4ec5
	s_load_dwordx4 s[8:11], s[2:3], 0x0
	s_waitcnt lgkmcnt(0)
	s_barrier
	global_load_dwordx4 v[0:3], v8, s[6:7] offset:16
	global_load_dwordx4 v[4:7], v8, s[6:7]
	v_mul_u32_u24_sdwa v8, v16, s0 dst_sel:DWORD dst_unused:UNUSED_PAD src0_sel:WORD_0 src1_sel:DWORD
	v_lshrrev_b32_e32 v39, 18, v8
	v_mul_lo_u16_e32 v8, 13, v39
	v_sub_u16_e32 v40, v16, v8
	v_lshlrev_b16_e32 v8, 2, v40
	v_lshlrev_b32_e32 v18, 3, v8
	global_load_dwordx4 v[12:15], v18, s[6:7]
	global_load_dwordx4 v[8:11], v18, s[6:7] offset:16
	v_mov_b32_e32 v18, 3
	v_lshlrev_b32_sdwa v77, v18, v74 dst_sel:DWORD dst_unused:UNUSED_PAD src0_sel:DWORD src1_sel:WORD_0
	v_add_u32_e32 v70, 0xc00, v77
	ds_read2_b64 v[18:21], v77 offset1:195
	v_add_u32_e32 v71, 0x1800, v77
	v_add_u32_e32 v73, 0x2400, v77
	;; [unrolled: 1-line block ×3, first 2 shown]
	v_mul_u32_u24_e32 v41, 0x41, v22
	ds_read2_b64 v[22:25], v70 offset0:6 offset1:201
	ds_read2_b64 v[26:29], v71 offset0:12 offset1:207
	;; [unrolled: 1-line block ×4, first 2 shown]
	s_movk_i32 s1, 0x41
	v_add_lshl_u32 v194, v41, v38, 3
	v_mad_legacy_u16 v38, v39, s1, v40
	v_lshlrev_b32_e32 v193, 3, v38
	s_mov_b32 s0, 0x3f737871
	s_mov_b32 s16, 0x3f167918
	;; [unrolled: 1-line block ×4, first 2 shown]
	s_waitcnt lgkmcnt(0)
	s_barrier
	s_waitcnt vmcnt(3)
	v_pk_mul_f32 v[42:43], v[30:31], v[0:1] op_sel:[0,1]
	s_waitcnt vmcnt(2)
	v_pk_mul_f32 v[38:39], v[22:23], v[4:5] op_sel:[0,1]
	v_mov_b32_e32 v40, v7
	v_mov_b32_e32 v44, v3
	v_pk_fma_f32 v[56:57], v[22:23], v[4:5], v[38:39] op_sel:[0,0,1] op_sel_hi:[1,1,0] neg_lo:[0,0,1] neg_hi:[0,0,1]
	v_pk_fma_f32 v[22:23], v[22:23], v[4:5], v[38:39] op_sel:[0,0,1] op_sel_hi:[1,0,0]
	v_pk_mul_f32 v[38:39], v[26:27], v[40:41] op_sel_hi:[1,0]
	v_pk_fma_f32 v[40:41], v[30:31], v[0:1], v[42:43] op_sel:[0,0,1] op_sel_hi:[1,1,0] neg_lo:[0,0,1] neg_hi:[0,0,1]
	v_pk_fma_f32 v[30:31], v[30:31], v[0:1], v[42:43] op_sel:[0,0,1] op_sel_hi:[1,0,0]
	v_pk_mul_f32 v[42:43], v[34:35], v[44:45] op_sel_hi:[1,0]
	s_waitcnt vmcnt(1)
	v_pk_mul_f32 v[46:47], v[24:25], v[12:13] op_sel:[0,1]
	v_mov_b32_e32 v48, v15
	s_waitcnt vmcnt(0)
	v_pk_mul_f32 v[50:51], v[32:33], v[8:9] op_sel:[0,1]
	v_mov_b32_e32 v54, v11
	v_mov_b32_e32 v57, v23
	v_pk_fma_f32 v[22:23], v[26:27], v[6:7], v[38:39] op_sel:[0,0,1] op_sel_hi:[1,1,0] neg_lo:[0,0,1] neg_hi:[0,0,1]
	v_pk_fma_f32 v[26:27], v[26:27], v[6:7], v[38:39] op_sel:[0,0,1] op_sel_hi:[1,0,0]
	v_mov_b32_e32 v41, v31
	v_pk_fma_f32 v[30:31], v[34:35], v[2:3], v[42:43] op_sel:[0,0,1] op_sel_hi:[1,1,0] neg_lo:[0,0,1] neg_hi:[0,0,1]
	v_pk_fma_f32 v[34:35], v[34:35], v[2:3], v[42:43] op_sel:[0,0,1] op_sel_hi:[1,0,0]
	v_pk_fma_f32 v[44:45], v[24:25], v[12:13], v[46:47] op_sel:[0,0,1] op_sel_hi:[1,1,0] neg_lo:[0,0,1] neg_hi:[0,0,1]
	v_pk_fma_f32 v[24:25], v[24:25], v[12:13], v[46:47] op_sel:[0,0,1] op_sel_hi:[1,0,0]
	v_pk_mul_f32 v[46:47], v[28:29], v[48:49] op_sel_hi:[1,0]
	v_pk_fma_f32 v[48:49], v[32:33], v[8:9], v[50:51] op_sel:[0,0,1] op_sel_hi:[1,1,0] neg_lo:[0,0,1] neg_hi:[0,0,1]
	v_pk_fma_f32 v[32:33], v[32:33], v[8:9], v[50:51] op_sel:[0,0,1] op_sel_hi:[1,0,0]
	v_pk_mul_f32 v[50:51], v[36:37], v[54:55] op_sel_hi:[1,0]
	v_mov_b32_e32 v23, v27
	v_mov_b32_e32 v31, v35
	;; [unrolled: 1-line block ×3, first 2 shown]
	v_pk_fma_f32 v[32:33], v[36:37], v[10:11], v[50:51] op_sel:[0,0,1] op_sel_hi:[1,1,0] neg_lo:[0,0,1] neg_hi:[0,0,1]
	v_pk_fma_f32 v[36:37], v[36:37], v[10:11], v[50:51] op_sel:[0,0,1] op_sel_hi:[1,0,0]
	v_pk_add_f32 v[50:51], v[22:23], v[40:41]
	v_pk_add_f32 v[54:55], v[56:57], v[30:31] neg_lo:[0,1] neg_hi:[0,1]
	v_pk_fma_f32 v[50:51], v[50:51], 0.5, v[18:19] op_sel_hi:[1,0,1] neg_lo:[1,0,0] neg_hi:[1,0,0]
	v_pk_mul_f32 v[58:59], v[54:55], s[0:1] op_sel_hi:[1,0]
	v_pk_add_f32 v[60:61], v[22:23], v[40:41] neg_lo:[0,1] neg_hi:[0,1]
	v_pk_add_f32 v[66:67], v[56:57], v[22:23] neg_lo:[0,1] neg_hi:[0,1]
	;; [unrolled: 1-line block ×3, first 2 shown]
	v_pk_add_f32 v[26:27], v[18:19], v[56:57]
	v_pk_mul_f32 v[64:65], v[60:61], s[16:17] op_sel_hi:[1,0]
	v_pk_add_f32 v[66:67], v[66:67], v[68:69]
	v_pk_add_f32 v[68:69], v[50:51], v[58:59] op_sel:[0,1] op_sel_hi:[1,0]
	v_pk_add_f32 v[50:51], v[50:51], v[58:59] op_sel:[0,1] op_sel_hi:[1,0] neg_lo:[0,1] neg_hi:[0,1]
	v_pk_add_f32 v[26:27], v[26:27], v[22:23]
	v_pk_add_f32 v[50:51], v[50:51], v[64:65] op_sel:[0,1] op_sel_hi:[1,0] neg_lo:[0,1] neg_hi:[0,1]
	v_pk_add_f32 v[58:59], v[68:69], v[64:65] op_sel:[0,1] op_sel_hi:[1,0]
	v_pk_add_f32 v[26:27], v[26:27], v[40:41]
	v_mov_b32_e32 v64, v58
	v_mov_b32_e32 v65, v51
	v_pk_add_f32 v[26:27], v[26:27], v[30:31]
	v_pk_fma_f32 v[64:65], v[66:67], s[2:3], v[64:65] op_sel_hi:[1,0,1]
	ds_write2_b64 v194, v[26:27], v[64:65] offset1:13
	v_pk_add_f32 v[26:27], v[56:57], v[30:31]
	v_pk_add_f32 v[22:23], v[22:23], v[56:57] neg_lo:[0,1] neg_hi:[0,1]
	v_pk_fma_f32 v[18:19], v[26:27], 0.5, v[18:19] op_sel_hi:[1,0,1] neg_lo:[1,0,0] neg_hi:[1,0,0]
	v_pk_add_f32 v[26:27], v[40:41], v[30:31] neg_lo:[0,1] neg_hi:[0,1]
	v_pk_mul_f32 v[30:31], v[54:55], s[16:17] op_sel_hi:[1,0]
	v_pk_add_f32 v[22:23], v[22:23], v[26:27]
	v_pk_mul_f32 v[26:27], v[60:61], s[0:1] op_sel_hi:[1,0]
	v_mov_b32_e32 v45, v25
	v_pk_add_f32 v[40:41], v[18:19], v[26:27] op_sel:[0,1] op_sel_hi:[1,0] neg_lo:[0,1] neg_hi:[0,1]
	v_pk_add_f32 v[18:19], v[18:19], v[26:27] op_sel:[0,1] op_sel_hi:[1,0]
	v_pk_fma_f32 v[24:25], v[28:29], v[14:15], v[46:47] op_sel:[0,0,1] op_sel_hi:[1,1,0] neg_lo:[0,0,1] neg_hi:[0,0,1]
	v_pk_fma_f32 v[28:29], v[28:29], v[14:15], v[46:47] op_sel:[0,0,1] op_sel_hi:[1,0,0]
	v_pk_add_f32 v[18:19], v[18:19], v[30:31] op_sel:[0,1] op_sel_hi:[1,0] neg_lo:[0,1] neg_hi:[0,1]
	v_pk_add_f32 v[26:27], v[40:41], v[30:31] op_sel:[0,1] op_sel_hi:[1,0]
	v_mov_b32_e32 v25, v29
	v_mov_b32_e32 v30, v26
	;; [unrolled: 1-line block ×5, first 2 shown]
	v_pk_add_f32 v[28:29], v[24:25], v[48:49]
	v_pk_fma_f32 v[30:31], v[22:23], s[2:3], v[30:31] op_sel_hi:[1,0,1]
	v_pk_fma_f32 v[18:19], v[22:23], s[2:3], v[18:19] op_sel_hi:[1,0,1]
	v_mov_b32_e32 v51, v59
	v_pk_add_f32 v[34:35], v[44:45], v[32:33] neg_lo:[0,1] neg_hi:[0,1]
	v_pk_add_f32 v[38:39], v[44:45], v[24:25] neg_lo:[0,1] neg_hi:[0,1]
	;; [unrolled: 1-line block ×3, first 2 shown]
	v_pk_fma_f32 v[28:29], v[28:29], 0.5, v[20:21] op_sel_hi:[1,0,1] neg_lo:[1,0,0] neg_hi:[1,0,0]
	ds_write2_b64 v194, v[30:31], v[18:19] offset0:26 offset1:39
	v_pk_fma_f32 v[18:19], v[66:67], s[2:3], v[50:51] op_sel_hi:[1,0,1]
	v_pk_add_f32 v[36:37], v[24:25], v[48:49] neg_lo:[0,1] neg_hi:[0,1]
	v_pk_add_f32 v[38:39], v[38:39], v[42:43]
	v_pk_fma_f32 v[42:43], v[34:35], s[0:1], v[28:29] op_sel:[1,0,0] op_sel_hi:[0,0,1] neg_lo:[1,0,0] neg_hi:[1,0,0]
	v_pk_fma_f32 v[28:29], v[34:35], s[0:1], v[28:29] op_sel:[1,0,0] op_sel_hi:[0,0,1]
	ds_write_b64 v194, v[18:19] offset:416
	v_pk_add_f32 v[18:19], v[20:21], v[44:45]
	v_pk_fma_f32 v[28:29], v[36:37], s[16:17], v[28:29] op_sel:[1,0,0] op_sel_hi:[0,0,1]
	v_pk_fma_f32 v[42:43], v[36:37], s[16:17], v[42:43] op_sel:[1,0,0] op_sel_hi:[0,0,1] neg_lo:[1,0,0] neg_hi:[1,0,0]
	v_pk_add_f32 v[18:19], v[18:19], v[24:25]
	v_mov_b32_e32 v47, v29
	v_pk_add_f32 v[18:19], v[18:19], v[48:49]
	v_mov_b32_e32 v29, v43
	v_pk_add_f32 v[18:19], v[18:19], v[32:33]
	v_pk_fma_f32 v[22:23], v[38:39], s[2:3], v[28:29] op_sel_hi:[1,0,1]
	ds_write2_b64 v193, v[18:19], v[22:23] offset1:13
	v_pk_add_f32 v[18:19], v[44:45], v[32:33]
	v_pk_add_f32 v[22:23], v[48:49], v[32:33] neg_lo:[0,1] neg_hi:[0,1]
	v_pk_fma_f32 v[18:19], v[18:19], 0.5, v[20:21] op_sel_hi:[1,0,1] neg_lo:[1,0,0] neg_hi:[1,0,0]
	v_pk_add_f32 v[20:21], v[24:25], v[44:45] neg_lo:[0,1] neg_hi:[0,1]
	v_mov_b32_e32 v46, v42
	v_pk_add_f32 v[20:21], v[20:21], v[22:23]
	v_pk_fma_f32 v[22:23], v[36:37], s[0:1], v[18:19] op_sel:[1,0,0] op_sel_hi:[0,0,1]
	v_pk_fma_f32 v[18:19], v[36:37], s[0:1], v[18:19] op_sel:[1,0,0] op_sel_hi:[0,0,1] neg_lo:[1,0,0] neg_hi:[1,0,0]
	v_pk_fma_f32 v[18:19], v[34:35], s[16:17], v[18:19] op_sel:[1,0,0] op_sel_hi:[0,0,1]
	v_pk_fma_f32 v[22:23], v[34:35], s[16:17], v[22:23] op_sel:[1,0,0] op_sel_hi:[0,0,1] neg_lo:[1,0,0] neg_hi:[1,0,0]
	v_mov_b32_e32 v24, v22
	v_mov_b32_e32 v25, v19
	;; [unrolled: 1-line block ×3, first 2 shown]
	v_pk_fma_f32 v[46:47], v[38:39], s[2:3], v[46:47] op_sel_hi:[1,0,1]
	v_pk_fma_f32 v[24:25], v[20:21], s[2:3], v[24:25] op_sel_hi:[1,0,1]
	;; [unrolled: 1-line block ×3, first 2 shown]
	s_movk_i32 s3, 0xfd
	ds_write2_b64 v193, v[18:19], v[24:25] offset0:26 offset1:39
	ds_write_b64 v193, v[46:47] offset:416
	v_mul_lo_u16_sdwa v18, v74, s3 dst_sel:DWORD dst_unused:UNUSED_PAD src0_sel:BYTE_0 src1_sel:DWORD
	v_lshrrev_b16_e32 v36, 14, v18
	v_mul_lo_u16_e32 v18, 0x41, v36
	v_sub_u16_e32 v18, v74, v18
	v_and_b32_e32 v37, 0xff, v18
	s_movk_i32 s3, 0x48
	v_mov_b64_e32 v[18:19], s[6:7]
	v_mad_u64_u32 v[18:19], s[18:19], v37, s3, v[18:19]
	s_waitcnt lgkmcnt(0)
	s_barrier
	global_load_dwordx4 v[32:35], v[18:19], off offset:416
	global_load_dwordx4 v[28:31], v[18:19], off offset:432
	;; [unrolled: 1-line block ×4, first 2 shown]
	global_load_dwordx2 v[80:81], v[18:19], off offset:480
	v_mul_u32_u24_e32 v18, 0x28a, v36
	v_add_lshl_u32 v192, v18, v37, 3
	ds_read2_b64 v[36:39], v77 offset1:195
	ds_read2_b64 v[40:43], v70 offset0:6 offset1:201
	ds_read2_b64 v[44:47], v71 offset0:12 offset1:207
	;; [unrolled: 1-line block ×4, first 2 shown]
	s_mov_b32 s18, 0x3f4f1bbd
	s_waitcnt lgkmcnt(0)
	s_barrier
	v_add_u32_e32 v73, 0x1400, v77
	s_waitcnt vmcnt(4)
	v_pk_mul_f32 v[18:19], v[38:39], v[32:33] op_sel:[0,1]
	s_nop 0
	v_pk_fma_f32 v[58:59], v[38:39], v[32:33], v[18:19] op_sel:[0,0,1] op_sel_hi:[1,1,0] neg_lo:[0,0,1] neg_hi:[0,0,1]
	v_pk_fma_f32 v[18:19], v[38:39], v[32:33], v[18:19] op_sel:[0,0,1] op_sel_hi:[1,0,0]
	s_nop 0
	v_mov_b32_e32 v18, v35
	v_mov_b32_e32 v59, v19
	v_pk_mul_f32 v[18:19], v[40:41], v[18:19] op_sel_hi:[1,0]
	s_nop 0
	v_pk_fma_f32 v[38:39], v[40:41], v[34:35], v[18:19] op_sel:[0,0,1] op_sel_hi:[1,1,0] neg_lo:[0,0,1] neg_hi:[0,0,1]
	v_pk_fma_f32 v[18:19], v[40:41], v[34:35], v[18:19] op_sel:[0,0,1] op_sel_hi:[1,0,0]
	s_nop 0
	v_mov_b32_e32 v39, v19
	s_waitcnt vmcnt(3)
	v_pk_mul_f32 v[18:19], v[42:43], v[28:29] op_sel:[0,1]
	s_nop 0
	v_pk_fma_f32 v[40:41], v[42:43], v[28:29], v[18:19] op_sel:[0,0,1] op_sel_hi:[1,1,0] neg_lo:[0,0,1] neg_hi:[0,0,1]
	v_pk_fma_f32 v[18:19], v[42:43], v[28:29], v[18:19] op_sel:[0,0,1] op_sel_hi:[1,0,0]
	s_nop 0
	v_mov_b32_e32 v18, v31
	v_mov_b32_e32 v41, v19
	v_pk_mul_f32 v[18:19], v[44:45], v[18:19] op_sel_hi:[1,0]
	v_pk_add_f32 v[66:67], v[58:59], v[40:41]
	v_pk_fma_f32 v[42:43], v[44:45], v[30:31], v[18:19] op_sel:[0,0,1] op_sel_hi:[1,1,0] neg_lo:[0,0,1] neg_hi:[0,0,1]
	v_pk_fma_f32 v[18:19], v[44:45], v[30:31], v[18:19] op_sel:[0,0,1] op_sel_hi:[1,0,0]
	s_waitcnt vmcnt(2)
	v_pk_mul_f32 v[44:45], v[46:47], v[24:25] op_sel:[0,1]
	v_mov_b32_e32 v18, v27
	v_pk_fma_f32 v[60:61], v[46:47], v[24:25], v[44:45] op_sel:[0,0,1] op_sel_hi:[1,1,0] neg_lo:[0,0,1] neg_hi:[0,0,1]
	v_pk_fma_f32 v[44:45], v[46:47], v[24:25], v[44:45] op_sel:[0,0,1] op_sel_hi:[1,0,0]
	v_mov_b32_e32 v43, v19
	v_mov_b32_e32 v61, v45
	v_pk_mul_f32 v[44:45], v[48:49], v[18:19] op_sel_hi:[1,0]
	s_waitcnt vmcnt(1)
	v_mov_b32_e32 v18, v23
	v_pk_fma_f32 v[46:47], v[48:49], v[26:27], v[44:45] op_sel:[0,0,1] op_sel_hi:[1,1,0] neg_lo:[0,0,1] neg_hi:[0,0,1]
	v_pk_fma_f32 v[44:45], v[48:49], v[26:27], v[44:45] op_sel:[0,0,1] op_sel_hi:[1,0,0]
	v_pk_mul_f32 v[48:49], v[50:51], v[20:21] op_sel:[0,1]
	v_mov_b32_e32 v47, v45
	v_pk_fma_f32 v[64:65], v[50:51], v[20:21], v[48:49] op_sel:[0,0,1] op_sel_hi:[1,1,0] neg_lo:[0,0,1] neg_hi:[0,0,1]
	v_pk_fma_f32 v[48:49], v[50:51], v[20:21], v[48:49] op_sel:[0,0,1] op_sel_hi:[1,0,0]
	v_pk_add_f32 v[66:67], v[66:67], v[60:61]
	v_mov_b32_e32 v65, v49
	v_pk_mul_f32 v[48:49], v[54:55], v[18:19] op_sel_hi:[1,0]
	v_pk_add_f32 v[82:83], v[60:61], v[64:65]
	v_pk_fma_f32 v[50:51], v[54:55], v[22:23], v[48:49] op_sel:[0,0,1] op_sel_hi:[1,1,0] neg_lo:[0,0,1] neg_hi:[0,0,1]
	v_pk_fma_f32 v[48:49], v[54:55], v[22:23], v[48:49] op_sel:[0,0,1] op_sel_hi:[1,0,0]
	v_pk_add_f32 v[66:67], v[66:67], v[64:65]
	v_mov_b32_e32 v51, v49
	s_waitcnt vmcnt(0)
	v_pk_mul_f32 v[48:49], v[56:57], v[80:81] op_sel:[0,1]
	v_pk_fma_f32 v[82:83], v[82:83], 0.5, v[58:59] op_sel_hi:[1,0,1] neg_lo:[1,0,0] neg_hi:[1,0,0]
	v_pk_fma_f32 v[54:55], v[56:57], v[80:81], v[48:49] op_sel:[0,0,1] op_sel_hi:[1,1,0] neg_lo:[0,0,1] neg_hi:[0,0,1]
	v_pk_fma_f32 v[48:49], v[56:57], v[80:81], v[48:49] op_sel:[0,0,1] op_sel_hi:[1,0,0]
	v_pk_add_f32 v[90:91], v[60:61], v[64:65] neg_lo:[0,1] neg_hi:[0,1]
	v_mov_b32_e32 v55, v49
	v_pk_add_f32 v[48:49], v[36:37], v[38:39]
	v_pk_add_f32 v[84:85], v[40:41], v[54:55] neg_lo:[0,1] neg_hi:[0,1]
	v_pk_add_f32 v[48:49], v[48:49], v[42:43]
	v_pk_mul_f32 v[86:87], v[84:85], s[0:1] op_sel_hi:[1,0]
	v_pk_add_f32 v[48:49], v[48:49], v[46:47]
	v_pk_add_f32 v[66:67], v[66:67], v[54:55]
	;; [unrolled: 1-line block ×3, first 2 shown]
	v_pk_add_f32 v[68:69], v[40:41], v[60:61] neg_lo:[0,1] neg_hi:[0,1]
	v_pk_add_f32 v[70:71], v[54:55], v[64:65] neg_lo:[0,1] neg_hi:[0,1]
	v_mov_b32_e32 v18, v19
	v_mov_b32_e32 v19, v42
	;; [unrolled: 1-line block ×4, first 2 shown]
	v_pk_add_f32 v[88:89], v[82:83], v[86:87] op_sel:[0,1] op_sel_hi:[1,0] neg_lo:[0,1] neg_hi:[0,1]
	v_pk_mul_f32 v[92:93], v[90:91], s[16:17] op_sel_hi:[1,0]
	v_pk_add_f32 v[82:83], v[82:83], v[86:87] op_sel:[0,1] op_sel_hi:[1,0]
	v_pk_add_f32 v[68:69], v[68:69], v[70:71]
	v_pk_add_f32 v[70:71], v[48:49], v[66:67]
	v_pk_add_f32 v[48:49], v[48:49], v[66:67] neg_lo:[0,1] neg_hi:[0,1]
	v_pk_add_f32 v[18:19], v[18:19], v[44:45] neg_lo:[0,1] neg_hi:[0,1]
	;; [unrolled: 1-line block ×4, first 2 shown]
	v_pk_add_f32 v[88:89], v[88:89], v[92:93] op_sel:[0,1] op_sel_hi:[1,0] neg_lo:[0,1] neg_hi:[0,1]
	v_pk_add_f32 v[82:83], v[92:93], v[82:83] op_sel:[1,0] op_sel_hi:[0,1]
	v_pk_add_f32 v[44:45], v[44:45], v[66:67]
	v_pk_mul_f32 v[66:67], v[68:69], s[2:3] op_sel_hi:[1,0]
	v_mov_b32_e32 v86, v82
	v_mov_b32_e32 v82, v83
	;; [unrolled: 1-line block ×4, first 2 shown]
	v_pk_add_f32 v[66:67], v[66:67], v[82:83] op_sel:[1,0] op_sel_hi:[0,1]
	v_pk_fma_f32 v[68:69], v[68:69], s[2:3], v[86:87] op_sel_hi:[1,0,1]
	v_pk_mul_f32 v[82:83], v[66:67], s[18:19] op_sel_hi:[1,0]
	v_pk_add_f32 v[56:57], v[42:43], v[46:47]
	v_pk_fma_f32 v[82:83], v[66:67], s[16:17], v[82:83] op_sel:[0,0,1] op_sel_hi:[1,1,0] neg_lo:[0,0,1] neg_hi:[0,0,1]
	v_pk_mul_f32 v[66:67], v[68:69], s[16:17] op_sel_hi:[1,0]
	v_pk_fma_f32 v[56:57], v[56:57], 0.5, v[36:37] op_sel_hi:[1,0,1] neg_lo:[1,0,0] neg_hi:[1,0,0]
	v_pk_fma_f32 v[86:87], v[68:69], s[18:19], v[66:67] op_sel:[0,0,1] op_sel_hi:[1,0,0]
	v_pk_fma_f32 v[66:67], v[68:69], s[18:19], v[66:67] op_sel:[0,0,1] op_sel_hi:[1,0,0] neg_lo:[0,0,1] neg_hi:[0,0,1]
	v_pk_add_f32 v[68:69], v[38:39], v[50:51]
	v_mov_b32_e32 v87, v67
	v_pk_add_f32 v[66:67], v[38:39], v[50:51] neg_lo:[0,1] neg_hi:[0,1]
	v_pk_add_f32 v[38:39], v[42:43], v[38:39] neg_lo:[0,1] neg_hi:[0,1]
	;; [unrolled: 1-line block ×4, first 2 shown]
	v_pk_add_f32 v[38:39], v[38:39], v[42:43]
	v_pk_add_f32 v[42:43], v[40:41], v[54:55]
	v_pk_add_f32 v[40:41], v[60:61], v[40:41] neg_lo:[0,1] neg_hi:[0,1]
	v_pk_fma_f32 v[42:43], v[42:43], 0.5, v[58:59] op_sel_hi:[1,0,1] neg_lo:[1,0,0] neg_hi:[1,0,0]
	v_pk_mul_f32 v[58:59], v[90:91], s[0:1] op_sel_hi:[1,0]
	v_pk_add_f32 v[40:41], v[40:41], v[46:47]
	v_pk_mul_f32 v[46:47], v[66:67], s[0:1] op_sel_hi:[1,0]
	v_pk_mul_f32 v[60:61], v[84:85], s[16:17] op_sel_hi:[1,0]
	v_pk_add_f32 v[64:65], v[42:43], v[58:59] op_sel:[0,1] op_sel_hi:[1,0] neg_lo:[0,1] neg_hi:[0,1]
	v_pk_add_f32 v[42:43], v[42:43], v[58:59] op_sel:[0,1] op_sel_hi:[1,0]
	v_pk_fma_f32 v[36:37], v[68:69], 0.5, v[36:37] op_sel_hi:[1,0,1] neg_lo:[1,0,0] neg_hi:[1,0,0]
	v_pk_add_f32 v[50:51], v[56:57], v[46:47] op_sel:[0,1] op_sel_hi:[1,0] neg_lo:[0,1] neg_hi:[0,1]
	v_pk_add_f32 v[46:47], v[56:57], v[46:47] op_sel:[0,1] op_sel_hi:[1,0]
	v_pk_add_f32 v[42:43], v[42:43], v[60:61] op_sel:[0,1] op_sel_hi:[1,0] neg_lo:[0,1] neg_hi:[0,1]
	v_pk_add_f32 v[58:59], v[64:65], v[60:61] op_sel:[0,1] op_sel_hi:[1,0]
	v_pk_mul_f32 v[68:69], v[66:67], s[16:17] op_sel_hi:[1,0]
	v_pk_fma_f32 v[46:47], v[18:19], s[16:17], v[46:47] op_sel_hi:[1,0,1]
	v_pk_fma_f32 v[50:51], v[18:19], s[16:17], v[50:51] op_sel_hi:[1,0,1] neg_lo:[1,0,0] neg_hi:[1,0,0]
	v_pk_fma_f32 v[56:57], v[18:19], s[0:1], v[36:37] op_sel_hi:[1,0,1] neg_lo:[1,0,0] neg_hi:[1,0,0]
	v_pk_fma_f32 v[18:19], v[18:19], s[0:1], v[36:37] op_sel_hi:[1,0,1]
	v_mov_b32_e32 v60, v58
	v_mov_b32_e32 v61, v43
	v_pk_add_f32 v[18:19], v[18:19], v[68:69] op_sel:[0,1] op_sel_hi:[1,0] neg_lo:[0,1] neg_hi:[0,1]
	v_pk_add_f32 v[36:37], v[56:57], v[68:69] op_sel:[0,1] op_sel_hi:[1,0]
	v_pk_fma_f32 v[60:61], v[40:41], s[2:3], v[60:61] op_sel_hi:[1,0,1]
	v_mov_b32_e32 v43, v59
	v_mov_b32_e32 v56, v36
	v_mov_b32_e32 v57, v19
	v_pk_mul_f32 v[64:65], v[60:61], s[0:1] op_sel_hi:[1,0]
	v_mov_b32_e32 v19, v37
	v_pk_fma_f32 v[36:37], v[40:41], s[2:3], v[42:43] op_sel_hi:[1,0,1]
	v_pk_fma_f32 v[56:57], v[38:39], s[2:3], v[56:57] op_sel_hi:[1,0,1]
	v_pk_fma_f32 v[68:69], v[60:61], s[2:3], v[64:65] op_sel:[0,0,1] op_sel_hi:[1,0,0]
	v_pk_fma_f32 v[60:61], v[60:61], s[2:3], v[64:65] op_sel:[0,0,1] op_sel_hi:[1,0,0] neg_lo:[0,0,1] neg_hi:[0,0,1]
	v_pk_fma_f32 v[18:19], v[38:39], s[2:3], v[18:19] op_sel_hi:[1,0,1]
	s_mov_b32 s16, 0xbf737871
	s_mov_b32 s17, s0
	v_pk_mul_f32 v[38:39], v[36:37], s[2:3] op_sel_hi:[1,0]
	v_mov_b32_e32 v54, v50
	v_mov_b32_e32 v55, v47
	;; [unrolled: 1-line block ×3, first 2 shown]
	v_pk_fma_f32 v[36:37], v[36:37], s[16:17], v[38:39] op_sel:[0,0,1] op_sel_hi:[1,1,0] neg_lo:[0,0,1] neg_hi:[0,0,1]
	v_pk_fma_f32 v[54:55], v[44:45], s[2:3], v[54:55] op_sel_hi:[1,0,1]
	v_mov_b32_e32 v47, v51
	v_pk_add_f32 v[50:51], v[56:57], v[68:69]
	v_pk_add_f32 v[38:39], v[18:19], v[36:37] op_sel:[0,1] op_sel_hi:[1,0]
	v_pk_fma_f32 v[44:45], v[44:45], s[2:3], v[46:47] op_sel_hi:[1,0,1]
	ds_write2_b64 v192, v[50:51], v[38:39] offset0:130 offset1:195
	v_pk_add_f32 v[38:39], v[54:55], v[82:83]
	v_add_u32_e32 v42, 0x800, v192
	v_pk_add_f32 v[46:47], v[44:45], v[86:87]
	v_pk_add_f32 v[66:67], v[54:55], v[82:83] neg_lo:[0,1] neg_hi:[0,1]
	ds_write2_b64 v42, v[38:39], v[48:49] offset0:4 offset1:69
	v_pk_add_f32 v[38:39], v[44:45], v[86:87] neg_lo:[0,1] neg_hi:[0,1]
	v_pk_add_f32 v[40:41], v[56:57], v[68:69] neg_lo:[0,1] neg_hi:[0,1]
	v_pk_add_f32 v[18:19], v[18:19], v[36:37] op_sel:[0,1] op_sel_hi:[1,0] neg_lo:[0,1] neg_hi:[0,1]
	v_add_u32_e32 v36, 0x1000, v192
	v_add_u32_e32 v82, 0x2800, v77
	ds_write2_b64 v192, v[70:71], v[46:47] offset1:65
	ds_write2_b64 v42, v[38:39], v[40:41] offset0:134 offset1:199
	ds_write2_b64 v36, v[18:19], v[66:67] offset0:8 offset1:73
	s_waitcnt lgkmcnt(0)
	s_barrier
	ds_read2_b64 v[58:61], v73 offset0:10 offset1:205
	ds_read2_b64 v[54:57], v77 offset1:195
	ds_read2_b64 v[48:51], v82 offset0:20 offset1:215
	ds_read_b64 v[64:65], v77 offset:3120
	ds_read_b64 v[70:71], v77 offset:8320
	;; [unrolled: 1-line block ×3, first 2 shown]
	s_movk_i32 s16, 0x1000
	v_cmp_gt_u16_e64 s[2:3], s1, v74
	s_and_saveexec_b64 s[0:1], s[2:3]
	s_cbranch_execz .LBB0_9
; %bb.8:
	ds_read_b64 v[66:67], v77 offset:4680
	ds_read_b64 v[62:63], v77 offset:9880
	ds_read_b64 v[52:53], v77 offset:15080
.LBB0_9:
	s_or_b64 exec, exec, s[0:1]
	v_lshlrev_b32_e32 v18, 4, v74
	v_mov_b32_e32 v19, 0
	v_lshl_add_u64 v[36:37], s[6:7], 0, v[18:19]
	v_add_co_u32_e32 v36, vcc, 0x1000, v36
	v_lshl_add_u64 v[16:17], v[16:17], 4, s[6:7]
	s_nop 0
	v_addc_co_u32_e32 v37, vcc, 0, v37, vcc
	v_add_co_u32_e32 v16, vcc, 0x1000, v16
	v_add_u32_e32 v18, 0x1860, v18
	s_nop 0
	v_addc_co_u32_e32 v17, vcc, 0, v17, vcc
	s_mov_b64 s[0:1], 0x249
	global_load_dwordx4 v[36:39], v[36:37], off offset:1000
	v_lshl_add_u64 v[84:85], v[74:75], 0, s[0:1]
	global_load_dwordx4 v[40:43], v[16:17], off offset:1000
	v_lshl_add_u64 v[16:17], s[6:7], 0, v[18:19]
	v_add_co_u32_e32 v16, vcc, 0x1000, v16
	s_movk_i32 s0, 0xffbf
	s_nop 0
	v_addc_co_u32_e32 v17, vcc, 0, v17, vcc
	s_mov_b32 s1, -1
	global_load_dwordx4 v[44:47], v[16:17], off offset:1000
	v_lshl_add_u64 v[16:17], v[74:75], 0, s[0:1]
	v_cndmask_b32_e64 v17, v17, v85, s[2:3]
	v_cndmask_b32_e64 v16, v16, v84, s[2:3]
	v_lshl_add_u64 v[16:17], v[16:17], 4, s[6:7]
	v_add_co_u32_e32 v16, vcc, s16, v16
	s_mov_b32 s0, 0x3f5db3d7
	s_nop 0
	v_addc_co_u32_e32 v17, vcc, 0, v17, vcc
	global_load_dwordx4 v[16:19], v[16:17], off offset:1000
	s_waitcnt vmcnt(3) lgkmcnt(5)
	v_pk_mul_f32 v[84:85], v[58:59], v[36:37] op_sel:[0,1]
	v_mov_b32_e32 v86, v39
	v_pk_fma_f32 v[88:89], v[58:59], v[36:37], v[84:85] op_sel:[0,0,1] op_sel_hi:[1,1,0] neg_lo:[0,0,1] neg_hi:[0,0,1]
	v_pk_fma_f32 v[58:59], v[58:59], v[36:37], v[84:85] op_sel:[0,0,1] op_sel_hi:[1,0,0]
	s_waitcnt lgkmcnt(3)
	v_pk_mul_f32 v[84:85], v[48:49], v[86:87] op_sel_hi:[1,0]
	s_waitcnt vmcnt(2)
	v_pk_mul_f32 v[86:87], v[60:61], v[40:41] op_sel:[0,1]
	v_mov_b32_e32 v58, v43
	v_mov_b32_e32 v89, v59
	v_pk_fma_f32 v[90:91], v[48:49], v[38:39], v[84:85] op_sel:[0,0,1] op_sel_hi:[1,1,0] neg_lo:[0,0,1] neg_hi:[0,0,1]
	v_pk_fma_f32 v[48:49], v[48:49], v[38:39], v[84:85] op_sel:[0,0,1] op_sel_hi:[1,0,0]
	v_pk_fma_f32 v[84:85], v[60:61], v[40:41], v[86:87] op_sel:[0,0,1] op_sel_hi:[1,1,0] neg_lo:[0,0,1] neg_hi:[0,0,1]
	v_pk_fma_f32 v[60:61], v[60:61], v[40:41], v[86:87] op_sel:[0,0,1] op_sel_hi:[1,0,0]
	v_pk_mul_f32 v[58:59], v[50:51], v[58:59] op_sel_hi:[1,0]
	s_waitcnt vmcnt(1) lgkmcnt(1)
	v_pk_mul_f32 v[86:87], v[70:71], v[44:45] op_sel:[0,1]
	v_mov_b32_e32 v48, v47
	v_mov_b32_e32 v91, v49
	v_pk_add_f32 v[92:93], v[54:55], v[88:89]
	v_mov_b32_e32 v85, v61
	v_pk_fma_f32 v[60:61], v[50:51], v[42:43], v[58:59] op_sel:[0,0,1] op_sel_hi:[1,1,0] neg_lo:[0,0,1] neg_hi:[0,0,1]
	v_pk_fma_f32 v[50:51], v[50:51], v[42:43], v[58:59] op_sel:[0,0,1] op_sel_hi:[1,0,0]
	v_pk_fma_f32 v[94:95], v[70:71], v[44:45], v[86:87] op_sel:[1,0,0] op_sel_hi:[0,1,1]
	v_pk_fma_f32 v[70:71], v[70:71], v[44:45], v[86:87] op_sel:[1,0,0] op_sel_hi:[0,0,1] neg_lo:[0,0,1] neg_hi:[0,0,1]
	s_waitcnt lgkmcnt(0)
	v_pk_mul_f32 v[58:59], v[68:69], v[48:49] op_sel_hi:[1,0]
	s_waitcnt vmcnt(0)
	v_pk_mul_f32 v[86:87], v[62:63], v[16:17] op_sel:[1,0]
	v_pk_mul_f32 v[96:97], v[52:53], v[18:19] op_sel:[1,0]
	v_pk_add_f32 v[48:49], v[92:93], v[90:91]
	v_pk_add_f32 v[92:93], v[88:89], v[90:91]
	v_pk_add_f32 v[88:89], v[88:89], v[90:91] neg_lo:[0,1] neg_hi:[0,1]
	v_mov_b32_e32 v61, v51
	v_pk_add_f32 v[50:51], v[56:57], v[84:85]
	v_pk_fma_f32 v[90:91], v[68:69], v[46:47], v[58:59] op_sel:[1,0,0] op_sel_hi:[0,1,1]
	v_pk_fma_f32 v[68:69], v[68:69], v[46:47], v[58:59] op_sel:[1,0,0] op_sel_hi:[0,0,1] neg_lo:[0,0,1] neg_hi:[0,0,1]
	v_pk_fma_f32 v[98:99], v[62:63], v[16:17], v[86:87] op_sel:[0,0,1] op_sel_hi:[1,1,0] neg_lo:[0,0,1] neg_hi:[0,0,1]
	v_pk_fma_f32 v[58:59], v[62:63], v[16:17], v[86:87] op_sel:[0,0,1] op_sel_hi:[0,1,0]
	v_pk_fma_f32 v[86:87], v[52:53], v[18:19], v[96:97] op_sel:[0,0,1] op_sel_hi:[1,1,0] neg_lo:[0,0,1] neg_hi:[0,0,1]
	v_pk_fma_f32 v[52:53], v[52:53], v[18:19], v[96:97] op_sel:[0,0,1] op_sel_hi:[0,1,0]
	v_pk_fma_f32 v[62:63], v[92:93], 0.5, v[54:55] op_sel_hi:[1,0,1] neg_lo:[1,0,0] neg_hi:[1,0,0]
	v_pk_mul_f32 v[88:89], v[88:89], s[0:1] op_sel_hi:[1,0]
	v_pk_add_f32 v[54:55], v[50:51], v[60:61]
	v_pk_add_f32 v[50:51], v[84:85], v[60:61]
	v_pk_add_f32 v[60:61], v[84:85], v[60:61] neg_lo:[0,1] neg_hi:[0,1]
	v_mov_b32_e32 v91, v69
	v_mov_b32_e32 v99, v59
	;; [unrolled: 1-line block ×3, first 2 shown]
	v_pk_add_f32 v[58:59], v[62:63], v[88:89] op_sel:[0,1] op_sel_hi:[1,0]
	v_pk_add_f32 v[52:53], v[62:63], v[88:89] op_sel:[0,1] op_sel_hi:[1,0] neg_lo:[0,1] neg_hi:[0,1]
	v_pk_fma_f32 v[56:57], v[50:51], 0.5, v[56:57] op_sel_hi:[1,0,1] neg_lo:[1,0,0] neg_hi:[1,0,0]
	v_pk_mul_f32 v[60:61], v[60:61], s[0:1] op_sel_hi:[1,0]
	v_mov_b32_e32 v62, v71
	v_mov_b32_e32 v63, v94
	v_mov_b32_e32 v68, v69
	v_mov_b32_e32 v69, v90
	v_mov_b32_e32 v95, v71
	v_pk_add_f32 v[84:85], v[56:57], v[60:61] op_sel:[0,1] op_sel_hi:[1,0] neg_lo:[0,1] neg_hi:[0,1]
	v_pk_add_f32 v[56:57], v[56:57], v[60:61] op_sel:[0,1] op_sel_hi:[1,0]
	v_pk_add_f32 v[60:61], v[64:65], v[62:63]
	v_pk_add_f32 v[62:63], v[62:63], v[68:69]
	;; [unrolled: 1-line block ×3, first 2 shown]
	v_pk_fma_f32 v[62:63], v[62:63], 0.5, v[64:65] op_sel_hi:[1,0,1] neg_lo:[1,0,0] neg_hi:[1,0,0]
	v_pk_add_f32 v[64:65], v[94:95], v[90:91] neg_lo:[0,1] neg_hi:[0,1]
	v_pk_add_f32 v[70:71], v[98:99], v[86:87]
	v_pk_fma_f32 v[68:69], v[64:65], s[0:1], v[62:63] op_sel_hi:[1,0,1]
	v_pk_fma_f32 v[64:65], v[64:65], s[0:1], v[62:63] op_sel_hi:[1,0,1] neg_lo:[1,0,0] neg_hi:[1,0,0]
	v_mov_b32_e32 v62, v68
	v_mov_b32_e32 v63, v65
	v_mov_b32_e32 v65, v69
	v_pk_add_f32 v[68:69], v[66:67], v[98:99]
	v_pk_fma_f32 v[70:71], v[70:71], 0.5, v[66:67] op_sel_hi:[1,0,1] neg_lo:[1,0,0] neg_hi:[1,0,0]
	v_pk_add_f32 v[66:67], v[98:99], v[86:87] neg_lo:[0,1] neg_hi:[0,1]
	v_mov_b32_e32 v50, v58
	v_pk_mul_f32 v[88:89], v[66:67], s[0:1] op_sel_hi:[1,0]
	v_pk_add_f32 v[66:67], v[68:69], v[86:87]
	v_pk_add_f32 v[86:87], v[70:71], v[88:89] op_sel:[0,1] op_sel_hi:[1,0]
	v_pk_add_f32 v[70:71], v[70:71], v[88:89] op_sel:[0,1] op_sel_hi:[1,0] neg_lo:[0,1] neg_hi:[0,1]
	v_mov_b32_e32 v51, v53
	v_mov_b32_e32 v53, v59
	;; [unrolled: 1-line block ×8, first 2 shown]
	ds_write2_b64 v77, v[48:49], v[54:55] offset1:195
	ds_write2_b64 v73, v[50:51], v[56:57] offset0:10 offset1:205
	ds_write2_b64 v82, v[52:53], v[58:59] offset0:20 offset1:215
	ds_write_b64 v77, v[60:61] offset:3120
	ds_write_b64 v77, v[62:63] offset:8320
	;; [unrolled: 1-line block ×3, first 2 shown]
	s_and_saveexec_b64 s[0:1], s[2:3]
	s_cbranch_execz .LBB0_11
; %bb.10:
	ds_write_b64 v77, v[66:67] offset:4680
	ds_write_b64 v77, v[68:69] offset:9880
	;; [unrolled: 1-line block ×3, first 2 shown]
.LBB0_11:
	s_or_b64 exec, exec, s[0:1]
	s_waitcnt lgkmcnt(0)
	s_barrier
	s_and_saveexec_b64 s[0:1], s[4:5]
	s_cbranch_execz .LBB0_13
; %bb.12:
	v_mov_b32_e32 v73, 0
	v_lshl_add_u64 v[86:87], s[12:13], 0, v[72:73]
	v_add_co_u32_e32 v84, vcc, 0x3000, v86
	ds_read_b64 v[82:83], v77
	s_nop 0
	v_addc_co_u32_e32 v85, vcc, 0, v87, vcc
	global_load_dwordx2 v[84:85], v[84:85], off offset:3312
	s_mov_b64 s[6:7], 0x3cf0
	v_lshl_add_u64 v[88:89], v[86:87], 0, s[6:7]
	s_movk_i32 s6, 0x4000
	s_waitcnt vmcnt(0) lgkmcnt(0)
	v_mul_f32_e32 v73, v83, v85
	v_mul_f32_e32 v91, v82, v85
	v_fma_f32 v90, v82, v84, -v73
	v_fmac_f32_e32 v91, v83, v84
	ds_write_b64 v77, v[90:91]
	global_load_dwordx2 v[90:91], v[88:89], off offset:1200
	v_add_u32_e32 v73, 0x400, v72
	ds_read2_b64 v[82:85], v73 offset0:22 offset1:172
	s_waitcnt vmcnt(0) lgkmcnt(0)
	v_mul_f32_e32 v75, v83, v91
	v_mul_f32_e32 v93, v82, v91
	v_fma_f32 v92, v82, v90, -v75
	v_fmac_f32_e32 v93, v83, v90
	global_load_dwordx2 v[82:83], v[88:89], off offset:2400
	s_waitcnt vmcnt(0)
	v_mul_f32_e32 v75, v85, v83
	global_load_dwordx2 v[88:89], v[88:89], off offset:3600
	v_mul_f32_e32 v91, v84, v83
	v_fma_f32 v90, v84, v82, -v75
	v_fmac_f32_e32 v91, v85, v82
	ds_write2_b64 v73, v[92:93], v[90:91] offset0:22 offset1:172
	v_add_u32_e32 v73, 0xc00, v72
	ds_read2_b64 v[82:85], v73 offset0:66 offset1:216
	s_waitcnt vmcnt(0) lgkmcnt(0)
	v_mul_f32_e32 v75, v83, v89
	v_fma_f32 v90, v82, v88, -v75
	v_mul_f32_e32 v91, v82, v89
	v_add_co_u32_e32 v82, vcc, s6, v86
	v_fmac_f32_e32 v91, v83, v88
	s_nop 0
	v_addc_co_u32_e32 v83, vcc, 0, v87, vcc
	global_load_dwordx2 v[82:83], v[82:83], off offset:4016
	s_movk_i32 s6, 0x5000
	s_waitcnt vmcnt(0)
	v_mul_f32_e32 v75, v85, v83
	v_mul_f32_e32 v89, v84, v83
	v_fma_f32 v88, v84, v82, -v75
	v_fmac_f32_e32 v89, v85, v82
	ds_write2_b64 v73, v[90:91], v[88:89] offset0:66 offset1:216
	v_add_co_u32_e32 v88, vcc, s6, v86
	v_add_u32_e32 v73, 0x1600, v72
	s_nop 0
	v_addc_co_u32_e32 v89, vcc, 0, v87, vcc
	global_load_dwordx2 v[90:91], v[88:89], off offset:1120
	ds_read2_b64 v[82:85], v73 offset0:46 offset1:196
	s_movk_i32 s6, 0x6000
	s_waitcnt vmcnt(0) lgkmcnt(0)
	v_mul_f32_e32 v75, v83, v91
	v_mul_f32_e32 v93, v82, v91
	v_fma_f32 v92, v82, v90, -v75
	v_fmac_f32_e32 v93, v83, v90
	global_load_dwordx2 v[82:83], v[88:89], off offset:2320
	s_waitcnt vmcnt(0)
	v_mul_f32_e32 v75, v85, v83
	global_load_dwordx2 v[88:89], v[88:89], off offset:3520
	v_mul_f32_e32 v91, v84, v83
	v_fma_f32 v90, v84, v82, -v75
	v_fmac_f32_e32 v91, v85, v82
	ds_write2_b64 v73, v[92:93], v[90:91] offset0:46 offset1:196
	v_add_u32_e32 v73, 0x2000, v72
	ds_read2_b64 v[82:85], v73 offset0:26 offset1:176
	s_waitcnt vmcnt(0) lgkmcnt(0)
	v_mul_f32_e32 v75, v83, v89
	v_mul_f32_e32 v91, v82, v89
	v_fma_f32 v90, v82, v88, -v75
	v_fmac_f32_e32 v91, v83, v88
	v_add_co_u32_e32 v88, vcc, s6, v86
	s_movk_i32 s6, 0x7000
	s_nop 0
	v_addc_co_u32_e32 v89, vcc, 0, v87, vcc
	global_load_dwordx2 v[82:83], v[88:89], off offset:624
	v_add_co_u32_e32 v86, vcc, s6, v86
	s_waitcnt vmcnt(0)
	v_mul_f32_e32 v75, v85, v83
	v_mul_f32_e32 v93, v84, v83
	v_fma_f32 v92, v84, v82, -v75
	v_fmac_f32_e32 v93, v85, v82
	ds_write2_b64 v73, v[90:91], v[92:93] offset0:26 offset1:176
	global_load_dwordx2 v[90:91], v[88:89], off offset:1824
	v_add_u32_e32 v73, 0x2800, v72
	ds_read2_b64 v[82:85], v73 offset0:70 offset1:220
	v_addc_co_u32_e32 v87, vcc, 0, v87, vcc
	s_waitcnt vmcnt(0) lgkmcnt(0)
	v_mul_f32_e32 v75, v83, v91
	v_mul_f32_e32 v93, v82, v91
	v_fma_f32 v92, v82, v90, -v75
	v_fmac_f32_e32 v93, v83, v90
	global_load_dwordx2 v[82:83], v[88:89], off offset:3024
	s_waitcnt vmcnt(0)
	v_mul_f32_e32 v75, v85, v83
	v_mul_f32_e32 v89, v84, v83
	v_fma_f32 v88, v84, v82, -v75
	v_fmac_f32_e32 v89, v85, v82
	ds_write2_b64 v73, v[92:93], v[88:89] offset0:70 offset1:220
	global_load_dwordx2 v[88:89], v[86:87], off offset:128
	v_add_u32_e32 v73, 0x3200, v72
	ds_read2_b64 v[82:85], v73 offset0:50 offset1:200
	s_waitcnt vmcnt(0) lgkmcnt(0)
	v_mul_f32_e32 v75, v83, v89
	v_mul_f32_e32 v91, v82, v89
	v_fma_f32 v90, v82, v88, -v75
	v_fmac_f32_e32 v91, v83, v88
	global_load_dwordx2 v[82:83], v[86:87], off offset:1328
	s_waitcnt vmcnt(0)
	v_mul_f32_e32 v75, v85, v83
	v_mul_f32_e32 v87, v84, v83
	v_fma_f32 v86, v84, v82, -v75
	v_fmac_f32_e32 v87, v85, v82
	ds_write2_b64 v73, v[90:91], v[86:87] offset0:50 offset1:200
.LBB0_13:
	s_or_b64 exec, exec, s[0:1]
	s_waitcnt lgkmcnt(0)
	s_barrier
	s_and_saveexec_b64 s[0:1], s[4:5]
	s_cbranch_execz .LBB0_15
; %bb.14:
	v_add_u32_e32 v52, 0x800, v77
	v_add_u32_e32 v56, 0x1000, v77
	;; [unrolled: 1-line block ×5, first 2 shown]
	ds_read2_b64 v[48:51], v77 offset1:150
	ds_read2_b64 v[52:55], v52 offset0:44 offset1:194
	ds_read2_b64 v[56:59], v56 offset0:88 offset1:238
	;; [unrolled: 1-line block ×5, first 2 shown]
	ds_read_b64 v[78:79], v77 offset:14400
.LBB0_15:
	s_or_b64 exec, exec, s[0:1]
	s_waitcnt lgkmcnt(0)
	v_pk_add_f32 v[82:83], v[50:51], v[78:79] neg_lo:[0,1] neg_hi:[0,1]
	v_pk_add_f32 v[142:143], v[50:51], v[78:79]
	v_mov_b32_e32 v105, v82
	v_mov_b32_e32 v104, v142
	v_mov_b32_e32 v142, v83
	v_pk_add_f32 v[82:83], v[52:53], v[70:71] neg_lo:[0,1] neg_hi:[0,1]
	v_pk_add_f32 v[140:141], v[52:53], v[70:71]
	v_mov_b32_e32 v107, v82
	v_mov_b32_e32 v106, v140
	v_mov_b32_e32 v140, v83
	;; [unrolled: 5-line block ×3, first 2 shown]
	v_pk_add_f32 v[82:83], v[56:57], v[66:67] neg_lo:[0,1] neg_hi:[0,1]
	v_pk_add_f32 v[136:137], v[56:57], v[66:67]
	s_mov_b32 s38, 0xbf52af12
	v_mov_b32_e32 v110, v136
	v_mov_b32_e32 v111, v82
	;; [unrolled: 1-line block ×3, first 2 shown]
	v_pk_add_f32 v[82:83], v[58:59], v[64:65] neg_lo:[0,1] neg_hi:[0,1]
	v_pk_add_f32 v[134:135], v[58:59], v[64:65]
	s_mov_b32 s39, 0x3f116cb1
	s_mov_b32 s28, 0xbf6f5d39
	v_mov_b32_e32 v112, v134
	v_mov_b32_e32 v113, v82
	;; [unrolled: 1-line block ×3, first 2 shown]
	v_pk_add_f32 v[82:83], v[60:61], v[62:63] neg_lo:[0,1] neg_hi:[0,1]
	v_pk_add_f32 v[132:133], v[60:61], v[62:63]
	v_pk_mul_f32 v[144:145], v[142:143], s[38:39]
	s_mov_b32 s0, s39
	s_mov_b32 s1, s38
	;; [unrolled: 1-line block ×3, first 2 shown]
	v_mov_b32_e32 v114, v132
	v_mov_b32_e32 v115, v82
	v_mov_b32_e32 v132, v83
	v_pk_fma_f32 v[82:83], v[104:105], s[0:1], v[144:145] neg_lo:[0,0,1] neg_hi:[0,0,1]
	v_pk_fma_f32 v[146:147], v[104:105], s[0:1], v[144:145]
	v_pk_mul_f32 v[148:149], v[140:141], s[28:29]
	s_mov_b32 s6, s29
	s_mov_b32 s7, s28
	;; [unrolled: 1-line block ×3, first 2 shown]
	v_mov_b32_e32 v83, v147
	v_pk_fma_f32 v[84:85], v[106:107], s[6:7], v[148:149] neg_lo:[0,0,1] neg_hi:[0,0,1]
	v_pk_fma_f32 v[150:151], v[106:107], s[6:7], v[148:149]
	s_mov_b32 s37, 0xbf788fa5
	v_pk_add_f32 v[82:83], v[48:49], v[82:83]
	v_mov_b32_e32 v85, v151
	v_pk_mul_f32 v[152:153], v[138:139], s[36:37]
	s_mov_b32 s16, s37
	s_mov_b32 s17, s36
	s_mov_b32 s46, 0x3f29c268
	v_pk_add_f32 v[82:83], v[84:85], v[82:83]
	v_pk_fma_f32 v[84:85], v[108:109], s[16:17], v[152:153] neg_lo:[0,0,1] neg_hi:[0,0,1]
	v_pk_fma_f32 v[154:155], v[108:109], s[16:17], v[152:153]
	s_mov_b32 s47, 0xbf3f9e67
	v_mov_b32_e32 v85, v155
	v_pk_mul_f32 v[156:157], v[136:137], s[46:47]
	s_mov_b32 s20, s47
	s_mov_b32 s21, s46
	s_mov_b32 s30, 0x3f7e222b
	v_pk_add_f32 v[82:83], v[84:85], v[82:83]
	v_pk_fma_f32 v[84:85], v[110:111], s[20:21], v[156:157] neg_lo:[0,0,1] neg_hi:[0,0,1]
	v_pk_fma_f32 v[158:159], v[110:111], s[20:21], v[156:157]
	s_mov_b32 s31, 0x3df6dbef
	;; [unrolled: 9-line block ×3, first 2 shown]
	v_mov_b32_e32 v85, v163
	v_pk_mul_f32 v[164:165], v[132:133], s[40:41]
	s_mov_b32 s22, s41
	s_mov_b32 s23, s40
	v_pk_add_f32 v[82:83], v[84:85], v[82:83]
	v_pk_fma_f32 v[84:85], v[114:115], s[22:23], v[164:165] neg_lo:[0,0,1] neg_hi:[0,0,1]
	v_pk_fma_f32 v[166:167], v[114:115], s[22:23], v[164:165]
	s_mov_b32 s48, 0xbf7e222b
	s_mov_b32 s49, s31
	v_mov_b32_e32 v85, v167
	v_pk_mul_f32 v[168:169], v[142:143], s[48:49]
	s_mov_b32 s18, s31
	s_mov_b32 s19, s48
	v_pk_add_f32 v[82:83], v[84:85], v[82:83]
	v_pk_fma_f32 v[84:85], v[104:105], s[18:19], v[168:169] neg_lo:[0,0,1] neg_hi:[0,0,1]
	v_pk_fma_f32 v[170:171], v[104:105], s[18:19], v[168:169]
	v_pk_mul_f32 v[174:175], v[140:141], s[36:37]
	v_mov_b32_e32 v85, v171
	v_pk_fma_f32 v[86:87], v[106:107], s[16:17], v[174:175] neg_lo:[0,0,1] neg_hi:[0,0,1]
	v_pk_fma_f32 v[172:173], v[106:107], s[16:17], v[174:175]
	s_mov_b32 s24, 0x3f6f5d39
	s_mov_b32 s25, s29
	v_pk_add_f32 v[84:85], v[48:49], v[84:85]
	v_mov_b32_e32 v87, v173
	v_pk_mul_f32 v[176:177], v[138:139], s[24:25]
	s_mov_b32 s42, s29
	s_mov_b32 s43, s24
	v_pk_add_f32 v[84:85], v[86:87], v[84:85]
	v_pk_fma_f32 v[86:87], v[108:109], s[42:43], v[176:177] neg_lo:[0,0,1] neg_hi:[0,0,1]
	v_pk_fma_f32 v[178:179], v[108:109], s[42:43], v[176:177]
	v_pk_mul_f32 v[182:183], v[136:137], s[40:41]
	v_mov_b32_e32 v87, v179
	v_pk_add_f32 v[84:85], v[86:87], v[84:85]
	v_pk_fma_f32 v[86:87], v[110:111], s[22:23], v[182:183] neg_lo:[0,0,1] neg_hi:[0,0,1]
	v_pk_fma_f32 v[180:181], v[110:111], s[22:23], v[182:183]
	v_pk_mul_f32 v[186:187], v[134:135], s[38:39]
	v_mov_b32_e32 v87, v181
	v_pk_add_f32 v[84:85], v[86:87], v[84:85]
	v_pk_fma_f32 v[86:87], v[112:113], s[0:1], v[186:187] neg_lo:[0,0,1] neg_hi:[0,0,1]
	v_pk_fma_f32 v[184:185], v[112:113], s[0:1], v[186:187]
	s_mov_b32 s44, 0xbf29c268
	s_mov_b32 s45, s47
	v_mov_b32_e32 v87, v185
	s_mov_b32 s24, s47
	s_mov_b32 s25, s44
	v_pk_mul_f32 v[190:191], v[132:133], s[44:45]
	v_pk_add_f32 v[84:85], v[86:87], v[84:85]
	v_pk_fma_f32 v[86:87], v[114:115], s[24:25], v[190:191] neg_lo:[0,0,1] neg_hi:[0,0,1]
	v_pk_fma_f32 v[188:189], v[114:115], s[24:25], v[190:191]
	v_mov_b32_e32 v130, v12
	v_mov_b32_e32 v87, v189
	v_pk_add_f32 v[84:85], v[86:87], v[84:85]
	v_mov_b32_e32 v131, v12
	v_mov_b32_e32 v12, v13
	;; [unrolled: 1-line block ×50, first 2 shown]
	s_barrier
	s_and_saveexec_b64 s[34:35], s[4:5]
	s_cbranch_execz .LBB0_17
; %bb.16:
	v_pk_mul_f32 v[196:197], v[104:105], s[0:1]
	v_pk_mul_f32 v[198:199], v[106:107], s[6:7]
	v_pk_add_f32 v[144:145], v[144:145], v[196:197] neg_lo:[0,1] neg_hi:[0,1]
	v_pk_mul_f32 v[200:201], v[108:109], s[16:17]
	v_mov_b32_e32 v147, v145
	v_pk_add_f32 v[144:145], v[48:49], v[146:147]
	v_pk_add_f32 v[146:147], v[148:149], v[198:199] neg_lo:[0,1] neg_hi:[0,1]
	v_pk_mul_f32 v[202:203], v[110:111], s[20:21]
	v_mov_b32_e32 v151, v147
	v_pk_add_f32 v[146:147], v[152:153], v[200:201] neg_lo:[0,1] neg_hi:[0,1]
	v_pk_mul_f32 v[204:205], v[112:113], s[26:27]
	v_mov_b32_e32 v155, v147
	v_pk_add_f32 v[146:147], v[156:157], v[202:203] neg_lo:[0,1] neg_hi:[0,1]
	v_pk_mul_f32 v[206:207], v[114:115], s[22:23]
	v_mov_b32_e32 v159, v147
	v_pk_add_f32 v[146:147], v[160:161], v[204:205] neg_lo:[0,1] neg_hi:[0,1]
	v_pk_mul_f32 v[208:209], v[104:105], s[18:19]
	v_mov_b32_e32 v163, v147
	v_pk_add_f32 v[146:147], v[164:165], v[206:207] neg_lo:[0,1] neg_hi:[0,1]
	v_pk_mul_f32 v[210:211], v[106:107], s[16:17]
	v_mov_b32_e32 v167, v147
	v_pk_add_f32 v[146:147], v[168:169], v[208:209] neg_lo:[0,1] neg_hi:[0,1]
	v_pk_mul_f32 v[212:213], v[108:109], s[42:43]
	v_mov_b32_e32 v171, v147
	v_pk_add_f32 v[148:149], v[174:175], v[210:211] neg_lo:[0,1] neg_hi:[0,1]
	v_pk_mul_f32 v[214:215], v[110:111], s[22:23]
	v_pk_add_f32 v[146:147], v[48:49], v[170:171]
	v_mov_b32_e32 v173, v149
	v_pk_add_f32 v[148:149], v[176:177], v[212:213] neg_lo:[0,1] neg_hi:[0,1]
	v_pk_mul_f32 v[216:217], v[112:113], s[0:1]
	v_pk_add_f32 v[144:145], v[150:151], v[144:145]
	v_pk_add_f32 v[146:147], v[172:173], v[146:147]
	v_mov_b32_e32 v179, v149
	v_pk_add_f32 v[148:149], v[182:183], v[214:215] neg_lo:[0,1] neg_hi:[0,1]
	v_pk_mul_f32 v[218:219], v[114:115], s[24:25]
	v_pk_add_f32 v[50:51], v[50:51], v[48:49]
	v_pk_add_f32 v[144:145], v[154:155], v[144:145]
	v_pk_add_f32 v[146:147], v[178:179], v[146:147]
	v_mov_b32_e32 v181, v149
	v_pk_add_f32 v[148:149], v[186:187], v[216:217] neg_lo:[0,1] neg_hi:[0,1]
	v_pk_add_f32 v[50:51], v[52:53], v[50:51]
	v_pk_add_f32 v[144:145], v[158:159], v[144:145]
	;; [unrolled: 1-line block ×3, first 2 shown]
	v_mov_b32_e32 v185, v149
	v_pk_add_f32 v[148:149], v[190:191], v[218:219] neg_lo:[0,1] neg_hi:[0,1]
	v_pk_add_f32 v[50:51], v[54:55], v[50:51]
	v_pk_add_f32 v[144:145], v[162:163], v[144:145]
	;; [unrolled: 1-line block ×3, first 2 shown]
	v_mov_b32_e32 v189, v149
	v_lshlrev_b32_e32 v73, 3, v195
	v_pk_add_f32 v[50:51], v[56:57], v[50:51]
	v_pk_add_f32 v[144:145], v[166:167], v[144:145]
	;; [unrolled: 1-line block ×4, first 2 shown]
	ds_write2_b64 v73, v[144:145], v[146:147] offset0:2 offset1:3
	v_pk_mul_f32 v[144:145], v[142:143], s[28:29]
	v_pk_add_f32 v[50:51], v[60:61], v[50:51]
	v_pk_fma_f32 v[146:147], v[104:105], s[6:7], v[144:145]
	v_pk_fma_f32 v[148:149], v[104:105], s[6:7], v[144:145] neg_lo:[1,0,0] neg_hi:[1,0,0]
	v_pk_mul_f32 v[150:151], v[140:141], s[46:47]
	v_pk_add_f32 v[50:51], v[62:63], v[50:51]
	v_mov_b32_e32 v148, v146
	v_pk_fma_f32 v[152:153], v[106:107], s[20:21], v[150:151]
	v_pk_fma_f32 v[154:155], v[106:107], s[20:21], v[150:151] neg_lo:[1,0,0] neg_hi:[1,0,0]
	v_pk_add_f32 v[50:51], v[64:65], v[50:51]
	v_pk_add_f32 v[148:149], v[48:49], v[148:149]
	v_mov_b32_e32 v154, v152
	v_pk_add_f32 v[50:51], v[66:67], v[50:51]
	s_mov_b32 s43, 0xbeedf032
	v_pk_add_f32 v[148:149], v[154:155], v[148:149]
	v_pk_mul_f32 v[154:155], v[138:139], s[40:41]
	v_pk_add_f32 v[50:51], v[68:69], v[50:51]
	s_mov_b32 s50, s43
	s_mov_b32 s51, s41
	v_pk_fma_f32 v[156:157], v[108:109], s[22:23], v[154:155]
	v_pk_fma_f32 v[158:159], v[108:109], s[22:23], v[154:155] neg_lo:[1,0,0] neg_hi:[1,0,0]
	v_pk_add_f32 v[50:51], v[70:71], v[50:51]
	s_mov_b32 s42, s41
	v_pk_mul_f32 v[52:53], v[142:143], s[50:51]
	v_mov_b32_e32 v158, v156
	v_pk_add_f32 v[220:221], v[78:79], v[50:51]
	v_pk_fma_f32 v[50:51], v[104:105], s[42:43], v[52:53]
	v_pk_fma_f32 v[54:55], v[104:105], s[42:43], v[52:53] neg_lo:[1,0,0] neg_hi:[1,0,0]
	v_pk_add_f32 v[148:149], v[158:159], v[148:149]
	v_pk_mul_f32 v[158:159], v[136:137], s[48:49]
	v_mov_b32_e32 v54, v50
	v_pk_mul_f32 v[56:57], v[140:141], s[38:39]
	v_pk_fma_f32 v[160:161], v[110:111], s[18:19], v[158:159]
	v_pk_fma_f32 v[162:163], v[110:111], s[18:19], v[158:159] neg_lo:[1,0,0] neg_hi:[1,0,0]
	s_mov_b32 s47, 0x3e750f2a
	v_pk_add_f32 v[58:59], v[48:49], v[54:55]
	v_pk_fma_f32 v[54:55], v[106:107], s[0:1], v[56:57]
	v_pk_fma_f32 v[60:61], v[106:107], s[0:1], v[56:57] neg_lo:[1,0,0] neg_hi:[1,0,0]
	v_mov_b32_e32 v162, v160
	s_mov_b32 s50, s47
	s_mov_b32 s51, s37
	v_mov_b32_e32 v60, v54
	v_pk_add_f32 v[148:149], v[162:163], v[148:149]
	s_mov_b32 s46, s37
	v_pk_mul_f32 v[162:163], v[134:135], s[50:51]
	v_pk_add_f32 v[62:63], v[60:61], v[58:59]
	v_pk_mul_f32 v[60:61], v[138:139], s[48:49]
	v_pk_fma_f32 v[164:165], v[112:113], s[46:47], v[162:163]
	v_pk_fma_f32 v[166:167], v[112:113], s[46:47], v[162:163] neg_lo:[1,0,0] neg_hi:[1,0,0]
	s_mov_b32 s49, 0x3f52af12
	v_mov_b32_e32 v166, v164
	s_mov_b32 s52, s49
	s_mov_b32 s53, s39
	v_pk_add_f32 v[148:149], v[166:167], v[148:149]
	s_mov_b32 s48, s39
	v_pk_mul_f32 v[166:167], v[132:133], s[52:53]
	v_pk_mul_f32 v[176:177], v[140:141], s[30:31]
	v_pk_fma_f32 v[168:169], v[114:115], s[48:49], v[166:167]
	v_pk_fma_f32 v[170:171], v[114:115], s[48:49], v[166:167] neg_lo:[1,0,0] neg_hi:[1,0,0]
	v_pk_fma_f32 v[178:179], v[106:107], s[26:27], v[176:177]
	v_mov_b32_e32 v170, v168
	v_pk_add_f32 v[148:149], v[170:171], v[148:149]
	v_pk_mul_f32 v[170:171], v[142:143], s[44:45]
	v_pk_fma_f32 v[180:181], v[106:107], s[26:27], v[176:177] neg_lo:[1,0,0] neg_hi:[1,0,0]
	v_pk_fma_f32 v[172:173], v[104:105], s[24:25], v[170:171]
	v_pk_fma_f32 v[174:175], v[104:105], s[24:25], v[170:171] neg_lo:[1,0,0] neg_hi:[1,0,0]
	v_mov_b32_e32 v180, v178
	v_mov_b32_e32 v174, v172
	v_pk_add_f32 v[174:175], v[48:49], v[174:175]
	v_pk_mul_f32 v[142:143], v[142:143], s[36:37]
	v_pk_add_f32 v[174:175], v[180:181], v[174:175]
	v_pk_mul_f32 v[180:181], v[138:139], s[38:39]
	v_pk_fma_f32 v[58:59], v[108:109], s[18:19], v[60:61]
	v_pk_fma_f32 v[182:183], v[108:109], s[0:1], v[180:181]
	v_pk_fma_f32 v[184:185], v[108:109], s[0:1], v[180:181] neg_lo:[1,0,0] neg_hi:[1,0,0]
	v_pk_fma_f32 v[64:65], v[108:109], s[18:19], v[60:61] neg_lo:[1,0,0] neg_hi:[1,0,0]
	v_mov_b32_e32 v184, v182
	v_pk_add_f32 v[174:175], v[184:185], v[174:175]
	v_pk_mul_f32 v[184:185], v[136:137], s[50:51]
	v_pk_mul_f32 v[140:141], v[140:141], s[40:41]
	v_pk_fma_f32 v[186:187], v[110:111], s[46:47], v[184:185]
	v_pk_fma_f32 v[188:189], v[110:111], s[46:47], v[184:185] neg_lo:[1,0,0] neg_hi:[1,0,0]
	v_mov_b32_e32 v64, v58
	v_mov_b32_e32 v188, v186
	v_pk_add_f32 v[174:175], v[188:189], v[174:175]
	v_pk_mul_f32 v[188:189], v[134:135], s[40:41]
	v_pk_fma_f32 v[202:203], v[106:107], s[22:23], v[140:141] neg_lo:[1,0,0] neg_hi:[1,0,0]
	v_pk_fma_f32 v[190:191], v[112:113], s[22:23], v[188:189]
	v_pk_fma_f32 v[196:197], v[112:113], s[22:23], v[188:189] neg_lo:[1,0,0] neg_hi:[1,0,0]
	v_pk_add_f32 v[66:67], v[64:65], v[62:63]
	v_mov_b32_e32 v196, v190
	v_pk_add_f32 v[174:175], v[196:197], v[174:175]
	v_pk_mul_f32 v[196:197], v[132:133], s[28:29]
	v_pk_mul_f32 v[64:65], v[136:137], s[28:29]
	v_pk_fma_f32 v[198:199], v[114:115], s[6:7], v[196:197]
	v_pk_fma_f32 v[200:201], v[114:115], s[6:7], v[196:197] neg_lo:[1,0,0] neg_hi:[1,0,0]
	v_pk_mul_f32 v[138:139], v[138:139], s[44:45]
	v_mov_b32_e32 v200, v198
	v_pk_add_f32 v[174:175], v[200:201], v[174:175]
	ds_write2_b64 v73, v[148:149], v[174:175] offset0:4 offset1:5
	v_pk_fma_f32 v[148:149], v[104:105], s[16:17], v[142:143]
	v_pk_fma_f32 v[174:175], v[104:105], s[16:17], v[142:143] neg_lo:[1,0,0] neg_hi:[1,0,0]
	v_pk_fma_f32 v[200:201], v[106:107], s[22:23], v[140:141]
	v_mov_b32_e32 v174, v148
	v_pk_add_f32 v[174:175], v[48:49], v[174:175]
	v_mov_b32_e32 v202, v200
	v_pk_fma_f32 v[62:63], v[110:111], s[6:7], v[64:65]
	v_pk_fma_f32 v[68:69], v[110:111], s[6:7], v[64:65] neg_lo:[1,0,0] neg_hi:[1,0,0]
	v_pk_add_f32 v[174:175], v[202:203], v[174:175]
	v_pk_fma_f32 v[202:203], v[108:109], s[24:25], v[138:139]
	v_pk_fma_f32 v[204:205], v[108:109], s[24:25], v[138:139] neg_lo:[1,0,0] neg_hi:[1,0,0]
	v_mov_b32_e32 v68, v62
	v_mov_b32_e32 v204, v202
	v_pk_mul_f32 v[136:137], v[136:137], s[52:53]
	v_pk_fma_f32 v[142:143], v[104:105], s[16:17], v[142:143] neg_lo:[0,0,1] neg_hi:[0,0,1]
	v_pk_add_f32 v[70:71], v[68:69], v[66:67]
	v_pk_mul_f32 v[68:69], v[134:135], s[44:45]
	v_pk_add_f32 v[174:175], v[204:205], v[174:175]
	v_pk_fma_f32 v[204:205], v[110:111], s[48:49], v[136:137]
	v_pk_fma_f32 v[206:207], v[110:111], s[48:49], v[136:137] neg_lo:[1,0,0] neg_hi:[1,0,0]
	v_mov_b32_e32 v143, v149
	v_pk_fma_f32 v[140:141], v[106:107], s[22:23], v[140:141] neg_lo:[0,0,1] neg_hi:[0,0,1]
	v_pk_fma_f32 v[66:67], v[112:113], s[24:25], v[68:69]
	v_pk_fma_f32 v[78:79], v[112:113], s[24:25], v[68:69] neg_lo:[1,0,0] neg_hi:[1,0,0]
	v_mov_b32_e32 v206, v204
	v_pk_mul_f32 v[134:135], v[134:135], s[28:29]
	v_pk_add_f32 v[142:143], v[48:49], v[142:143]
	v_mov_b32_e32 v141, v201
	v_pk_fma_f32 v[138:139], v[108:109], s[24:25], v[138:139] neg_lo:[0,0,1] neg_hi:[0,0,1]
	v_mov_b32_e32 v78, v66
	v_pk_add_f32 v[174:175], v[206:207], v[174:175]
	v_pk_fma_f32 v[206:207], v[112:113], s[6:7], v[134:135]
	v_pk_fma_f32 v[208:209], v[112:113], s[6:7], v[134:135] neg_lo:[1,0,0] neg_hi:[1,0,0]
	v_pk_add_f32 v[140:141], v[140:141], v[142:143]
	v_mov_b32_e32 v139, v203
	v_pk_fma_f32 v[136:137], v[110:111], s[48:49], v[136:137] neg_lo:[0,0,1] neg_hi:[0,0,1]
	v_pk_add_f32 v[222:223], v[78:79], v[70:71]
	v_pk_mul_f32 v[78:79], v[132:133], s[36:37]
	v_mov_b32_e32 v208, v206
	v_pk_mul_f32 v[132:133], v[132:133], s[30:31]
	v_pk_add_f32 v[138:139], v[138:139], v[140:141]
	v_mov_b32_e32 v137, v205
	v_pk_fma_f32 v[134:135], v[112:113], s[6:7], v[134:135] neg_lo:[0,0,1] neg_hi:[0,0,1]
	v_pk_add_f32 v[174:175], v[208:209], v[174:175]
	v_pk_fma_f32 v[208:209], v[114:115], s[26:27], v[132:133]
	v_pk_fma_f32 v[210:211], v[114:115], s[26:27], v[132:133] neg_lo:[1,0,0] neg_hi:[1,0,0]
	v_pk_add_f32 v[136:137], v[136:137], v[138:139]
	v_mov_b32_e32 v135, v207
	v_pk_fma_f32 v[132:133], v[114:115], s[26:27], v[132:133] neg_lo:[0,0,1] neg_hi:[0,0,1]
	v_mov_b32_e32 v210, v208
	v_pk_add_f32 v[134:135], v[134:135], v[136:137]
	v_mov_b32_e32 v133, v209
	v_pk_add_f32 v[174:175], v[210:211], v[174:175]
	v_pk_add_f32 v[132:133], v[132:133], v[134:135]
	ds_write2_b64 v73, v[174:175], v[132:133] offset0:6 offset1:7
	v_pk_fma_f32 v[132:133], v[104:105], s[24:25], v[170:171] neg_lo:[0,0,1] neg_hi:[0,0,1]
	v_pk_fma_f32 v[134:135], v[106:107], s[26:27], v[176:177] neg_lo:[0,0,1] neg_hi:[0,0,1]
	v_mov_b32_e32 v133, v173
	v_pk_add_f32 v[132:133], v[48:49], v[132:133]
	v_mov_b32_e32 v135, v179
	v_pk_add_f32 v[132:133], v[134:135], v[132:133]
	v_pk_fma_f32 v[134:135], v[108:109], s[0:1], v[180:181] neg_lo:[0,0,1] neg_hi:[0,0,1]
	v_pk_fma_f32 v[52:53], v[104:105], s[42:43], v[52:53] neg_lo:[0,0,1] neg_hi:[0,0,1]
	v_mov_b32_e32 v135, v183
	v_pk_add_f32 v[132:133], v[134:135], v[132:133]
	v_pk_fma_f32 v[134:135], v[110:111], s[46:47], v[184:185] neg_lo:[0,0,1] neg_hi:[0,0,1]
	v_pk_fma_f32 v[136:137], v[106:107], s[20:21], v[150:151] neg_lo:[0,0,1] neg_hi:[0,0,1]
	v_mov_b32_e32 v135, v187
	v_pk_add_f32 v[132:133], v[134:135], v[132:133]
	v_pk_fma_f32 v[134:135], v[112:113], s[22:23], v[188:189] neg_lo:[0,0,1] neg_hi:[0,0,1]
	v_mov_b32_e32 v53, v51
	v_mov_b32_e32 v135, v191
	v_pk_add_f32 v[132:133], v[134:135], v[132:133]
	v_pk_fma_f32 v[134:135], v[114:115], s[6:7], v[196:197] neg_lo:[0,0,1] neg_hi:[0,0,1]
	v_pk_fma_f32 v[50:51], v[106:107], s[0:1], v[56:57] neg_lo:[0,0,1] neg_hi:[0,0,1]
	v_mov_b32_e32 v135, v199
	v_pk_add_f32 v[132:133], v[134:135], v[132:133]
	v_pk_fma_f32 v[134:135], v[104:105], s[6:7], v[144:145] neg_lo:[0,0,1] neg_hi:[0,0,1]
	v_mov_b32_e32 v137, v153
	v_mov_b32_e32 v135, v147
	v_pk_add_f32 v[134:135], v[48:49], v[134:135]
	v_pk_add_f32 v[48:49], v[48:49], v[52:53]
	v_mov_b32_e32 v51, v55
	v_pk_add_f32 v[134:135], v[136:137], v[134:135]
	v_pk_fma_f32 v[136:137], v[108:109], s[22:23], v[154:155] neg_lo:[0,0,1] neg_hi:[0,0,1]
	v_pk_add_f32 v[48:49], v[50:51], v[48:49]
	v_pk_fma_f32 v[50:51], v[108:109], s[18:19], v[60:61] neg_lo:[0,0,1] neg_hi:[0,0,1]
	v_mov_b32_e32 v137, v157
	v_mov_b32_e32 v51, v59
	v_pk_add_f32 v[134:135], v[136:137], v[134:135]
	v_pk_fma_f32 v[136:137], v[110:111], s[18:19], v[158:159] neg_lo:[0,0,1] neg_hi:[0,0,1]
	v_pk_add_f32 v[48:49], v[50:51], v[48:49]
	v_pk_fma_f32 v[50:51], v[110:111], s[6:7], v[64:65] neg_lo:[0,0,1] neg_hi:[0,0,1]
	v_mov_b32_e32 v137, v161
	;; [unrolled: 6-line block ×3, first 2 shown]
	v_mov_b32_e32 v51, v67
	v_pk_fma_f32 v[70:71], v[114:115], s[16:17], v[78:79]
	v_pk_fma_f32 v[224:225], v[114:115], s[16:17], v[78:79] neg_lo:[1,0,0] neg_hi:[1,0,0]
	v_pk_add_f32 v[134:135], v[136:137], v[134:135]
	v_pk_fma_f32 v[136:137], v[114:115], s[48:49], v[166:167] neg_lo:[0,0,1] neg_hi:[0,0,1]
	v_pk_add_f32 v[48:49], v[50:51], v[48:49]
	v_pk_fma_f32 v[50:51], v[114:115], s[16:17], v[78:79] neg_lo:[0,0,1] neg_hi:[0,0,1]
	v_mov_b32_e32 v224, v70
	v_mov_b32_e32 v137, v169
	;; [unrolled: 1-line block ×3, first 2 shown]
	v_pk_add_f32 v[222:223], v[224:225], v[222:223]
	v_pk_add_f32 v[134:135], v[136:137], v[134:135]
	;; [unrolled: 1-line block ×3, first 2 shown]
	ds_write2_b64 v73, v[220:221], v[222:223] offset1:1
	ds_write2_b64 v73, v[132:133], v[134:135] offset0:8 offset1:9
	ds_write2_b64 v73, v[84:85], v[82:83] offset0:10 offset1:11
	ds_write_b64 v73, v[48:49] offset:96
.LBB0_17:
	s_or_b64 exec, exec, s[34:35]
	v_mov_b32_e32 v48, v44
	v_mov_b32_e32 v49, v44
	v_add_u32_e32 v44, 0xc00, v77
	s_waitcnt lgkmcnt(0)
	s_barrier
	ds_read2_b64 v[62:65], v44 offset0:6 offset1:201
	v_add_u32_e32 v73, 0x1800, v77
	ds_read2_b64 v[66:69], v73 offset0:12 offset1:207
	v_add_u32_e32 v75, 0x2400, v77
	;; [unrolled: 2-line block ×3, first 2 shown]
	ds_read2_b64 v[108:111], v132 offset0:24 offset1:219
	s_waitcnt lgkmcnt(3)
	v_pk_mul_f32 v[4:5], v[4:5], v[62:63]
	ds_read2_b64 v[58:61], v77 offset1:195
	v_pk_fma_f32 v[112:113], v[122:123], v[62:63], v[4:5] op_sel:[0,0,1] op_sel_hi:[1,1,0]
	v_pk_fma_f32 v[4:5], v[122:123], v[62:63], v[4:5] op_sel:[0,0,1] op_sel_hi:[1,1,0] neg_lo:[0,0,1] neg_hi:[0,0,1]
	s_waitcnt lgkmcnt(2)
	v_pk_mul_f32 v[0:1], v[0:1], v[104:105]
	v_mov_b32_e32 v113, v5
	v_pk_mul_f32 v[4:5], v[6:7], v[66:67]
	s_mov_b32 s0, 0x3f737871
	v_pk_fma_f32 v[6:7], v[120:121], v[66:67], v[4:5] op_sel:[0,0,1] op_sel_hi:[1,1,0]
	v_pk_fma_f32 v[4:5], v[120:121], v[66:67], v[4:5] op_sel:[0,0,1] op_sel_hi:[1,1,0] neg_lo:[0,0,1] neg_hi:[0,0,1]
	s_mov_b32 s16, 0x3f167918
	v_mov_b32_e32 v7, v5
	v_pk_fma_f32 v[4:5], v[118:119], v[104:105], v[0:1] op_sel:[0,0,1] op_sel_hi:[1,1,0]
	v_pk_fma_f32 v[0:1], v[118:119], v[104:105], v[0:1] op_sel:[0,0,1] op_sel_hi:[1,1,0] neg_lo:[0,0,1] neg_hi:[0,0,1]
	s_mov_b32 s17, 0x3f4f1bbd
	v_mov_b32_e32 v5, v1
	s_waitcnt lgkmcnt(1)
	v_pk_mul_f32 v[0:1], v[2:3], v[108:109]
	v_pk_add_f32 v[62:63], v[6:7], v[4:5]
	v_pk_fma_f32 v[2:3], v[116:117], v[108:109], v[0:1] op_sel:[0,0,1] op_sel_hi:[1,1,0]
	v_pk_fma_f32 v[0:1], v[116:117], v[108:109], v[0:1] op_sel:[0,0,1] op_sel_hi:[1,1,0] neg_lo:[0,0,1] neg_hi:[0,0,1]
	s_waitcnt lgkmcnt(0)
	v_pk_fma_f32 v[62:63], v[62:63], 0.5, v[58:59] op_sel_hi:[1,0,1] neg_lo:[1,0,0] neg_hi:[1,0,0]
	v_mov_b32_e32 v3, v1
	v_pk_add_f32 v[66:67], v[112:113], v[2:3] neg_lo:[0,1] neg_hi:[0,1]
	v_pk_add_f32 v[108:109], v[6:7], v[4:5] neg_lo:[0,1] neg_hi:[0,1]
	v_pk_mul_f32 v[104:105], v[66:67], s[0:1] op_sel_hi:[1,0]
	v_pk_add_f32 v[116:117], v[112:113], v[6:7] neg_lo:[0,1] neg_hi:[0,1]
	v_pk_add_f32 v[118:119], v[2:3], v[4:5] neg_lo:[0,1] neg_hi:[0,1]
	v_pk_add_f32 v[0:1], v[58:59], v[112:113]
	v_pk_mul_f32 v[114:115], v[108:109], s[16:17] op_sel_hi:[1,0]
	v_pk_add_f32 v[116:117], v[116:117], v[118:119]
	v_pk_add_f32 v[118:119], v[62:63], v[104:105] op_sel:[0,1] op_sel_hi:[1,0] neg_lo:[0,1] neg_hi:[0,1]
	v_pk_add_f32 v[62:63], v[62:63], v[104:105] op_sel:[0,1] op_sel_hi:[1,0]
	v_pk_add_f32 v[0:1], v[0:1], v[6:7]
	v_pk_add_f32 v[62:63], v[62:63], v[114:115] op_sel:[0,1] op_sel_hi:[1,0]
	v_pk_add_f32 v[104:105], v[118:119], v[114:115] op_sel:[0,1] op_sel_hi:[1,0] neg_lo:[0,1] neg_hi:[0,1]
	v_pk_mul_f32 v[12:13], v[12:13], v[64:65]
	s_mov_b32 s6, 0x3e9e377a
	v_pk_add_f32 v[0:1], v[0:1], v[4:5]
	v_mov_b32_e32 v114, v104
	v_mov_b32_e32 v115, v63
	v_pk_fma_f32 v[70:71], v[130:131], v[64:65], v[12:13] op_sel:[0,0,1] op_sel_hi:[1,1,0]
	v_pk_fma_f32 v[12:13], v[130:131], v[64:65], v[12:13] op_sel:[0,0,1] op_sel_hi:[1,1,0] neg_lo:[0,0,1] neg_hi:[0,0,1]
	v_pk_add_f32 v[0:1], v[0:1], v[2:3]
	v_pk_fma_f32 v[114:115], v[116:117], s[6:7], v[114:115] op_sel_hi:[1,0,1]
	v_mov_b32_e32 v71, v13
	v_pk_mul_f32 v[12:13], v[14:15], v[68:69]
	s_barrier
	ds_write2_b64 v194, v[0:1], v[114:115] offset1:13
	v_pk_add_f32 v[0:1], v[112:113], v[2:3]
	v_pk_fma_f32 v[14:15], v[128:129], v[68:69], v[12:13] op_sel:[0,0,1] op_sel_hi:[1,1,0]
	v_pk_fma_f32 v[12:13], v[128:129], v[68:69], v[12:13] op_sel:[0,0,1] op_sel_hi:[1,1,0] neg_lo:[0,0,1] neg_hi:[0,0,1]
	v_pk_mul_f32 v[8:9], v[8:9], v[106:107]
	v_pk_fma_f32 v[0:1], v[0:1], 0.5, v[58:59] op_sel_hi:[1,0,1] neg_lo:[1,0,0] neg_hi:[1,0,0]
	v_pk_add_f32 v[6:7], v[6:7], v[112:113] neg_lo:[0,1] neg_hi:[0,1]
	v_pk_add_f32 v[2:3], v[4:5], v[2:3] neg_lo:[0,1] neg_hi:[0,1]
	v_pk_mul_f32 v[4:5], v[108:109], s[0:1] op_sel_hi:[1,0]
	v_mov_b32_e32 v15, v13
	v_pk_fma_f32 v[12:13], v[126:127], v[106:107], v[8:9] op_sel:[0,0,1] op_sel_hi:[1,1,0]
	v_pk_fma_f32 v[8:9], v[126:127], v[106:107], v[8:9] op_sel:[0,0,1] op_sel_hi:[1,1,0] neg_lo:[0,0,1] neg_hi:[0,0,1]
	v_pk_add_f32 v[2:3], v[6:7], v[2:3]
	v_pk_mul_f32 v[6:7], v[66:67], s[16:17] op_sel_hi:[1,0]
	v_pk_add_f32 v[58:59], v[0:1], v[4:5] op_sel:[0,1] op_sel_hi:[1,0]
	v_pk_add_f32 v[0:1], v[0:1], v[4:5] op_sel:[0,1] op_sel_hi:[1,0] neg_lo:[0,1] neg_hi:[0,1]
	v_mov_b32_e32 v13, v9
	v_pk_mul_f32 v[8:9], v[10:11], v[110:111]
	v_pk_add_f32 v[0:1], v[0:1], v[6:7] op_sel:[0,1] op_sel_hi:[1,0]
	v_pk_add_f32 v[4:5], v[58:59], v[6:7] op_sel:[0,1] op_sel_hi:[1,0] neg_lo:[0,1] neg_hi:[0,1]
	v_pk_fma_f32 v[10:11], v[124:125], v[110:111], v[8:9] op_sel:[0,0,1] op_sel_hi:[1,1,0]
	v_pk_fma_f32 v[8:9], v[124:125], v[110:111], v[8:9] op_sel:[0,0,1] op_sel_hi:[1,1,0] neg_lo:[0,0,1] neg_hi:[0,0,1]
	v_mov_b32_e32 v6, v4
	v_mov_b32_e32 v7, v1
	v_mov_b32_e32 v1, v5
	v_mov_b32_e32 v11, v9
	v_pk_add_f32 v[8:9], v[14:15], v[12:13]
	v_pk_fma_f32 v[6:7], v[2:3], s[6:7], v[6:7] op_sel_hi:[1,0,1]
	v_pk_fma_f32 v[0:1], v[2:3], s[6:7], v[0:1] op_sel_hi:[1,0,1]
	v_mov_b32_e32 v63, v105
	v_pk_fma_f32 v[8:9], v[8:9], 0.5, v[60:61] op_sel_hi:[1,0,1] neg_lo:[1,0,0] neg_hi:[1,0,0]
	v_pk_add_f32 v[64:65], v[70:71], v[10:11] neg_lo:[0,1] neg_hi:[0,1]
	v_pk_add_f32 v[78:79], v[70:71], v[14:15] neg_lo:[0,1] neg_hi:[0,1]
	;; [unrolled: 1-line block ×3, first 2 shown]
	ds_write2_b64 v194, v[6:7], v[0:1] offset0:26 offset1:39
	v_pk_fma_f32 v[0:1], v[116:117], s[6:7], v[62:63] op_sel_hi:[1,0,1]
	v_pk_add_f32 v[68:69], v[14:15], v[12:13] neg_lo:[0,1] neg_hi:[0,1]
	v_pk_add_f32 v[78:79], v[78:79], v[106:107]
	v_pk_fma_f32 v[106:107], v[64:65], s[0:1], v[8:9] op_sel:[1,0,0] op_sel_hi:[0,0,1]
	v_pk_fma_f32 v[8:9], v[64:65], s[0:1], v[8:9] op_sel:[1,0,0] op_sel_hi:[0,0,1] neg_lo:[1,0,0] neg_hi:[1,0,0]
	ds_write_b64 v194, v[0:1] offset:416
	v_pk_add_f32 v[0:1], v[60:61], v[70:71]
	v_pk_fma_f32 v[8:9], v[68:69], s[16:17], v[8:9] op_sel:[1,0,0] op_sel_hi:[0,0,1] neg_lo:[1,0,0] neg_hi:[1,0,0]
	v_pk_fma_f32 v[106:107], v[68:69], s[16:17], v[106:107] op_sel:[1,0,0] op_sel_hi:[0,0,1]
	v_pk_add_f32 v[0:1], v[0:1], v[14:15]
	v_mov_b32_e32 v111, v9
	v_pk_add_f32 v[0:1], v[0:1], v[12:13]
	v_mov_b32_e32 v9, v107
	v_pk_add_f32 v[0:1], v[0:1], v[10:11]
	v_pk_fma_f32 v[2:3], v[78:79], s[6:7], v[8:9] op_sel_hi:[1,0,1]
	ds_write2_b64 v193, v[0:1], v[2:3] offset1:13
	v_pk_add_f32 v[0:1], v[70:71], v[10:11]
	v_pk_add_f32 v[2:3], v[14:15], v[70:71] neg_lo:[0,1] neg_hi:[0,1]
	v_pk_fma_f32 v[0:1], v[0:1], 0.5, v[60:61] op_sel_hi:[1,0,1] neg_lo:[1,0,0] neg_hi:[1,0,0]
	v_pk_add_f32 v[4:5], v[12:13], v[10:11] neg_lo:[0,1] neg_hi:[0,1]
	v_mov_b32_e32 v110, v106
	v_pk_add_f32 v[2:3], v[2:3], v[4:5]
	v_pk_fma_f32 v[4:5], v[68:69], s[0:1], v[0:1] op_sel:[1,0,0] op_sel_hi:[0,0,1] neg_lo:[1,0,0] neg_hi:[1,0,0]
	v_pk_fma_f32 v[0:1], v[68:69], s[0:1], v[0:1] op_sel:[1,0,0] op_sel_hi:[0,0,1]
	v_pk_fma_f32 v[0:1], v[64:65], s[16:17], v[0:1] op_sel:[1,0,0] op_sel_hi:[0,0,1] neg_lo:[1,0,0] neg_hi:[1,0,0]
	v_pk_fma_f32 v[4:5], v[64:65], s[16:17], v[4:5] op_sel:[1,0,0] op_sel_hi:[0,0,1]
	v_mov_b32_e32 v6, v4
	v_mov_b32_e32 v7, v1
	;; [unrolled: 1-line block ×3, first 2 shown]
	v_pk_fma_f32 v[6:7], v[2:3], s[6:7], v[6:7] op_sel_hi:[1,0,1]
	v_pk_fma_f32 v[0:1], v[2:3], s[6:7], v[0:1] op_sel_hi:[1,0,1]
	v_pk_fma_f32 v[110:111], v[78:79], s[6:7], v[110:111] op_sel_hi:[1,0,1]
	ds_write2_b64 v193, v[0:1], v[6:7] offset0:26 offset1:39
	ds_write_b64 v193, v[110:111] offset:416
	s_waitcnt lgkmcnt(0)
	s_barrier
	ds_read2_b64 v[0:3], v44 offset0:6 offset1:201
	ds_read2_b64 v[4:7], v77 offset1:195
	ds_read2_b64 v[8:11], v73 offset0:12 offset1:207
	ds_read2_b64 v[12:15], v75 offset0:18 offset1:213
	;; [unrolled: 1-line block ×3, first 2 shown]
	s_waitcnt lgkmcnt(4)
	v_pk_mul_f32 v[34:35], v[34:35], v[0:1]
	s_mov_b32 s18, 0xbf4f1bbd
	v_pk_fma_f32 v[62:63], v[96:97], v[0:1], v[34:35] op_sel:[0,0,1] op_sel_hi:[1,1,0]
	v_pk_fma_f32 v[0:1], v[96:97], v[0:1], v[34:35] op_sel:[0,0,1] op_sel_hi:[1,1,0] neg_lo:[0,0,1] neg_hi:[0,0,1]
	s_mov_b32 s19, s16
	v_mov_b32_e32 v63, v1
	s_waitcnt lgkmcnt(2)
	v_pk_mul_f32 v[0:1], v[30:31], v[8:9]
	s_waitcnt lgkmcnt(0)
	v_pk_fma_f32 v[30:31], v[98:99], v[8:9], v[0:1] op_sel:[0,0,1] op_sel_hi:[1,1,0]
	v_pk_fma_f32 v[0:1], v[98:99], v[8:9], v[0:1] op_sel:[0,0,1] op_sel_hi:[1,1,0] neg_lo:[0,0,1] neg_hi:[0,0,1]
	s_barrier
	v_mov_b32_e32 v31, v1
	v_pk_mul_f32 v[0:1], v[26:27], v[12:13]
	s_nop 0
	v_pk_fma_f32 v[8:9], v[100:101], v[12:13], v[0:1] op_sel:[0,0,1] op_sel_hi:[1,1,0]
	v_pk_fma_f32 v[0:1], v[100:101], v[12:13], v[0:1] op_sel:[0,0,1] op_sel_hi:[1,1,0] neg_lo:[0,0,1] neg_hi:[0,0,1]
	v_pk_add_f32 v[12:13], v[62:63], v[30:31] neg_lo:[0,1] neg_hi:[0,1]
	v_mov_b32_e32 v9, v1
	v_pk_mul_f32 v[0:1], v[22:23], v[58:59]
	v_pk_add_f32 v[34:35], v[30:31], v[8:9] neg_lo:[0,1] neg_hi:[0,1]
	v_pk_fma_f32 v[22:23], v[102:103], v[58:59], v[0:1] op_sel:[0,0,1] op_sel_hi:[1,1,0]
	v_pk_fma_f32 v[0:1], v[102:103], v[58:59], v[0:1] op_sel:[0,0,1] op_sel_hi:[1,1,0] neg_lo:[0,0,1] neg_hi:[0,0,1]
	v_mov_b32_e32 v56, v36
	v_mov_b32_e32 v23, v1
	v_pk_add_f32 v[0:1], v[30:31], v[8:9]
	v_pk_add_f32 v[26:27], v[62:63], v[22:23] neg_lo:[0,1] neg_hi:[0,1]
	v_pk_fma_f32 v[0:1], v[0:1], 0.5, v[4:5] op_sel_hi:[1,0,1] neg_lo:[1,0,0] neg_hi:[1,0,0]
	v_pk_add_f32 v[58:59], v[22:23], v[8:9] neg_lo:[0,1] neg_hi:[0,1]
	v_mov_b32_e32 v57, v36
	v_pk_add_f32 v[58:59], v[12:13], v[58:59]
	v_pk_fma_f32 v[12:13], v[26:27], s[0:1], v[0:1] op_sel:[1,0,0] op_sel_hi:[0,0,1]
	v_pk_fma_f32 v[0:1], v[26:27], s[0:1], v[0:1] op_sel:[1,0,0] op_sel_hi:[0,0,1] neg_lo:[1,0,0] neg_hi:[1,0,0]
	v_pk_fma_f32 v[0:1], v[34:35], s[16:17], v[0:1] op_sel:[1,0,0] op_sel_hi:[0,0,1] neg_lo:[1,0,0] neg_hi:[1,0,0]
	v_pk_fma_f32 v[64:65], v[34:35], s[16:17], v[12:13] op_sel:[1,0,0] op_sel_hi:[0,0,1]
	v_mov_b32_e32 v12, v64
	v_mov_b32_e32 v13, v1
	v_pk_fma_f32 v[66:67], v[58:59], s[6:7], v[12:13] op_sel_hi:[1,0,1]
	v_pk_mul_f32 v[12:13], v[32:33], v[6:7]
	s_mov_b32 s7, s16
	v_pk_fma_f32 v[32:33], v[86:87], v[6:7], v[12:13] op_sel:[0,0,1] op_sel_hi:[1,1,0]
	v_pk_fma_f32 v[6:7], v[86:87], v[6:7], v[12:13] op_sel:[0,0,1] op_sel_hi:[1,1,0] neg_lo:[0,0,1] neg_hi:[0,0,1]
	v_pk_mul_f32 v[12:13], v[28:29], v[2:3]
	v_mov_b32_e32 v33, v7
	v_pk_fma_f32 v[28:29], v[88:89], v[2:3], v[12:13] op_sel:[0,0,1] op_sel_hi:[1,1,0]
	v_pk_fma_f32 v[2:3], v[88:89], v[2:3], v[12:13] op_sel:[0,0,1] op_sel_hi:[1,1,0] neg_lo:[0,0,1] neg_hi:[0,0,1]
	v_pk_mul_f32 v[12:13], v[24:25], v[10:11]
	v_mov_b32_e32 v29, v3
	;; [unrolled: 4-line block ×4, first 2 shown]
	v_pk_fma_f32 v[68:69], v[94:95], v[60:61], v[14:15] op_sel:[0,0,1] op_sel_hi:[1,1,0]
	v_mov_b32_e32 v87, v20
	v_mov_b32_e32 v81, v68
	v_pk_add_f32 v[88:89], v[80:81], v[86:87] neg_lo:[0,1] neg_hi:[0,1]
	v_mov_b32_e32 v25, v11
	v_mov_b32_e32 v21, v13
	v_pk_fma_f32 v[14:15], v[94:95], v[60:61], v[14:15] op_sel:[0,0,1] op_sel_hi:[1,1,0] neg_lo:[0,0,1] neg_hi:[0,0,1]
	v_mov_b32_e32 v2, v89
	v_mov_b32_e32 v69, v15
	v_pk_add_f32 v[60:61], v[24:25], v[20:21]
	v_pk_add_f32 v[78:79], v[24:25], v[20:21] neg_lo:[0,1] neg_hi:[0,1]
	v_pk_add_f32 v[88:89], v[88:89], v[2:3]
	v_fma_f32 v1, -0.5, v60, v32
	v_pk_add_f32 v[70:71], v[28:29], v[68:69] neg_lo:[0,1] neg_hi:[0,1]
	v_mov_b32_e32 v89, v79
	v_fmamk_f32 v6, v71, 0xbf737871, v1
	v_pk_mul_f32 v[88:89], v[88:89], s[6:7]
	v_fmac_f32_e32 v1, 0x3f737871, v71
	v_pk_add_f32 v[80:81], v[86:87], v[80:81] neg_lo:[0,1] neg_hi:[0,1]
	v_sub_f32_e32 v2, v6, v89
	v_add_f32_e32 v1, v89, v1
	v_mov_b32_e32 v10, v81
	v_add_f32_e32 v2, v88, v2
	v_add_f32_e32 v6, v88, v1
	v_pk_add_f32 v[88:89], v[28:29], v[68:69]
	v_mov_b32_e32 v1, v32
	v_pk_add_f32 v[80:81], v[80:81], v[10:11]
	v_fmac_f32_e32 v1, -0.5, v88
	v_mov_b32_e32 v81, v71
	v_fmamk_f32 v12, v79, 0x3f737871, v1
	v_pk_mul_f32 v[80:81], v[80:81], s[6:7]
	v_fmac_f32_e32 v1, 0xbf737871, v79
	v_pk_add_f32 v[28:29], v[32:33], v[28:29]
	v_sub_f32_e32 v10, v12, v81
	v_add_f32_e32 v1, v81, v1
	v_pk_add_f32 v[24:25], v[28:29], v[24:25]
	v_mov_b32_e32 v14, v3
	v_mov_b32_e32 v12, v11
	v_add_f32_e32 v44, v80, v1
	v_pk_add_f32 v[20:21], v[24:25], v[20:21]
	v_fma_f32 v1, -0.5, v61, v7
	v_pk_add_f32 v[24:25], v[14:15], v[12:13] neg_lo:[0,1] neg_hi:[0,1]
	v_fmamk_f32 v29, v70, 0x3f737871, v1
	v_mov_b32_e32 v28, v25
	v_pk_add_f32 v[24:25], v[24:25], v[28:29]
	v_pk_add_f32 v[12:13], v[12:13], v[14:15] neg_lo:[0,1] neg_hi:[0,1]
	v_mov_b32_e32 v25, v78
	v_mov_b32_e32 v14, v13
	v_pk_mul_f32 v[24:25], v[24:25], s[6:7]
	v_fmac_f32_e32 v1, 0xbf737871, v70
	v_pk_add_f32 v[12:13], v[12:13], v[14:15]
	v_add_f32_e32 v3, v25, v29
	v_sub_f32_e32 v1, v1, v25
	v_fmac_f32_e32 v7, -0.5, v89
	v_mov_b32_e32 v13, v70
	v_add_f32_e32 v28, v24, v3
	v_add_f32_e32 v24, v24, v1
	v_fmamk_f32 v1, v78, 0xbf737871, v7
	v_pk_mul_f32 v[12:13], v[12:13], s[6:7]
	v_fmac_f32_e32 v7, 0x3f737871, v78
	v_add_f32_e32 v1, v13, v1
	v_add_f32_e32 v14, v12, v1
	v_sub_f32_e32 v1, v7, v13
	v_add_f32_e32 v32, v12, v1
	v_pk_add_f32 v[12:13], v[4:5], v[62:63]
	v_mov_b32_e32 v1, v65
	v_pk_add_f32 v[12:13], v[12:13], v[30:31]
	v_pk_mul_f32 v[28:29], v[28:29], s[16:17] op_sel_hi:[0,1]
	v_pk_add_f32 v[12:13], v[12:13], v[8:9]
	v_pk_fma_f32 v[0:1], v[58:59], s[6:7], v[0:1] op_sel_hi:[1,0,1]
	v_pk_add_f32 v[60:61], v[12:13], v[22:23]
	v_pk_mul_f32 v[12:13], v[24:25], s[16:17] op_sel_hi:[0,1]
	v_pk_fma_f32 v[6:7], v[6:7], s[18:19], v[12:13] op_sel_hi:[0,1,1] neg_lo:[0,0,1] neg_hi:[0,0,1]
	s_mov_b32 s18, s17
	v_pk_fma_f32 v[58:59], v[2:3], s[18:19], v[28:29] neg_lo:[0,0,1] neg_hi:[0,0,1]
	v_pk_fma_f32 v[2:3], v[2:3], s[18:19], v[28:29] op_sel_hi:[0,1,1]
	v_pk_add_f32 v[20:21], v[20:21], v[68:69]
	v_mov_b32_e32 v59, v3
	v_pk_add_f32 v[24:25], v[60:61], v[20:21]
	v_pk_add_f32 v[2:3], v[0:1], v[58:59]
	ds_write2_b64 v192, v[24:25], v[2:3] offset1:65
	v_pk_add_f32 v[2:3], v[62:63], v[22:23]
	v_pk_add_f32 v[8:9], v[8:9], v[22:23] neg_lo:[0,1] neg_hi:[0,1]
	v_pk_fma_f32 v[2:3], v[2:3], 0.5, v[4:5] op_sel_hi:[1,0,1] neg_lo:[1,0,0] neg_hi:[1,0,0]
	v_pk_add_f32 v[4:5], v[30:31], v[62:63] neg_lo:[0,1] neg_hi:[0,1]
	v_add_f32_e32 v10, v80, v10
	v_pk_add_f32 v[4:5], v[4:5], v[8:9]
	v_pk_fma_f32 v[8:9], v[34:35], s[0:1], v[2:3] op_sel:[1,0,0] op_sel_hi:[0,0,1]
	v_pk_fma_f32 v[2:3], v[34:35], s[0:1], v[2:3] op_sel:[1,0,0] op_sel_hi:[0,0,1] neg_lo:[1,0,0] neg_hi:[1,0,0]
	v_pk_fma_f32 v[2:3], v[26:27], s[16:17], v[2:3] op_sel:[1,0,0] op_sel_hi:[0,0,1]
	v_pk_fma_f32 v[8:9], v[26:27], s[16:17], v[8:9] op_sel:[1,0,0] op_sel_hi:[0,0,1] neg_lo:[1,0,0] neg_hi:[1,0,0]
	v_mov_b32_e32 v22, v8
	v_mov_b32_e32 v23, v3
	s_mov_b32 s1, s6
	v_pk_fma_f32 v[22:23], v[4:5], s[6:7], v[22:23] op_sel_hi:[1,0,1]
	s_mov_b32 s7, s0
	v_pk_mul_f32 v[14:15], v[14:15], s[0:1] op_sel_hi:[0,1]
	v_pk_fma_f32 v[24:25], v[10:11], s[6:7], v[14:15] neg_lo:[0,0,1] neg_hi:[0,0,1]
	v_pk_fma_f32 v[10:11], v[10:11], s[6:7], v[14:15] op_sel_hi:[0,1,1]
	s_mov_b32 s16, 0xbe9e377a
	s_mov_b32 s17, s0
	v_pk_mul_f32 v[14:15], v[32:33], s[0:1] op_sel_hi:[0,1]
	v_mov_b32_e32 v3, v9
	v_mov_b32_e32 v25, v11
	v_pk_fma_f32 v[14:15], v[44:45], s[16:17], v[14:15] op_sel_hi:[0,1,1] neg_lo:[0,0,1] neg_hi:[0,0,1]
	v_pk_fma_f32 v[2:3], v[4:5], s[6:7], v[2:3] op_sel_hi:[1,0,1]
	v_pk_add_f32 v[10:11], v[22:23], v[24:25]
	v_pk_add_f32 v[4:5], v[2:3], v[14:15]
	v_pk_add_f32 v[12:13], v[66:67], v[6:7] neg_lo:[0,1] neg_hi:[0,1]
	ds_write2_b64 v192, v[10:11], v[4:5] offset0:130 offset1:195
	v_pk_add_f32 v[4:5], v[66:67], v[6:7]
	v_pk_add_f32 v[6:7], v[60:61], v[20:21] neg_lo:[0,1] neg_hi:[0,1]
	v_add_u32_e32 v8, 0x800, v192
	ds_write2_b64 v8, v[4:5], v[6:7] offset0:4 offset1:69
	v_pk_add_f32 v[0:1], v[0:1], v[58:59] neg_lo:[0,1] neg_hi:[0,1]
	v_pk_add_f32 v[4:5], v[22:23], v[24:25] neg_lo:[0,1] neg_hi:[0,1]
	ds_write2_b64 v8, v[0:1], v[4:5] offset0:134 offset1:199
	v_pk_add_f32 v[0:1], v[2:3], v[14:15] neg_lo:[0,1] neg_hi:[0,1]
	v_add_u32_e32 v2, 0x1000, v192
	v_add_u32_e32 v27, 0x1400, v77
	v_add_u32_e32 v26, 0x2800, v77
	ds_write2_b64 v2, v[0:1], v[12:13] offset0:8 offset1:73
	s_waitcnt lgkmcnt(0)
	s_barrier
	ds_read2_b64 v[0:3], v77 offset1:195
	ds_read2_b64 v[8:11], v27 offset0:10 offset1:205
	ds_read2_b64 v[4:7], v26 offset0:20 offset1:215
	ds_read_b64 v[14:15], v77 offset:3120
	ds_read_b64 v[24:25], v77 offset:8320
	;; [unrolled: 1-line block ×3, first 2 shown]
	v_mov_b32_e32 v36, v37
	v_mov_b32_e32 v54, v38
	;; [unrolled: 1-line block ×14, first 2 shown]
	s_and_saveexec_b64 s[0:1], s[2:3]
	s_cbranch_execz .LBB0_19
; %bb.18:
	ds_read_b64 v[12:13], v77 offset:4680
	ds_read_b64 v[84:85], v77 offset:9880
	;; [unrolled: 1-line block ×3, first 2 shown]
.LBB0_19:
	s_or_b64 exec, exec, s[0:1]
	s_waitcnt lgkmcnt(4)
	v_pk_mul_f32 v[28:29], v[36:37], v[8:9]
	s_waitcnt lgkmcnt(3)
	v_pk_mul_f32 v[30:31], v[38:39], v[4:5]
	v_pk_mul_f32 v[32:33], v[40:41], v[10:11]
	v_pk_fma_f32 v[40:41], v[56:57], v[8:9], v[28:29] op_sel:[0,0,1] op_sel_hi:[1,1,0]
	v_pk_fma_f32 v[8:9], v[56:57], v[8:9], v[28:29] op_sel:[0,0,1] op_sel_hi:[1,1,0] neg_lo:[0,0,1] neg_hi:[0,0,1]
	s_mov_b32 s0, 0x3f5db3d7
	v_mov_b32_e32 v41, v9
	v_pk_fma_f32 v[8:9], v[54:55], v[4:5], v[30:31] op_sel:[0,0,1] op_sel_hi:[1,1,0]
	v_pk_fma_f32 v[4:5], v[54:55], v[4:5], v[30:31] op_sel:[0,0,1] op_sel_hi:[1,1,0] neg_lo:[0,0,1] neg_hi:[0,0,1]
	v_pk_mul_f32 v[34:35], v[42:43], v[6:7]
	v_mov_b32_e32 v9, v5
	v_pk_add_f32 v[4:5], v[0:1], v[40:41]
	v_pk_add_f32 v[28:29], v[40:41], v[8:9]
	;; [unrolled: 1-line block ×3, first 2 shown]
	v_pk_add_f32 v[8:9], v[40:41], v[8:9] neg_lo:[0,1] neg_hi:[0,1]
	v_pk_fma_f32 v[0:1], v[28:29], 0.5, v[0:1] op_sel_hi:[1,0,1] neg_lo:[1,0,0] neg_hi:[1,0,0]
	v_pk_mul_f32 v[8:9], v[8:9], s[0:1] op_sel_hi:[1,0]
	s_waitcnt lgkmcnt(1)
	v_pk_mul_f32 v[36:37], v[44:45], v[24:25]
	v_pk_add_f32 v[28:29], v[0:1], v[8:9] op_sel:[0,1] op_sel_hi:[1,0] neg_lo:[0,1] neg_hi:[0,1]
	v_pk_add_f32 v[0:1], v[0:1], v[8:9] op_sel:[0,1] op_sel_hi:[1,0]
	v_mov_b32_e32 v8, v28
	v_mov_b32_e32 v9, v1
	;; [unrolled: 1-line block ×3, first 2 shown]
	v_pk_fma_f32 v[28:29], v[52:53], v[10:11], v[32:33] op_sel:[0,0,1] op_sel_hi:[1,1,0]
	v_pk_fma_f32 v[10:11], v[52:53], v[10:11], v[32:33] op_sel:[0,0,1] op_sel_hi:[1,1,0] neg_lo:[0,0,1] neg_hi:[0,0,1]
	s_waitcnt lgkmcnt(0)
	v_pk_mul_f32 v[38:39], v[46:47], v[20:21]
	v_mov_b32_e32 v29, v11
	v_pk_fma_f32 v[10:11], v[50:51], v[6:7], v[34:35] op_sel:[0,0,1] op_sel_hi:[1,1,0]
	v_pk_fma_f32 v[6:7], v[50:51], v[6:7], v[34:35] op_sel:[0,0,1] op_sel_hi:[1,1,0] neg_lo:[0,0,1] neg_hi:[0,0,1]
	s_nop 0
	v_mov_b32_e32 v11, v7
	v_pk_add_f32 v[6:7], v[2:3], v[28:29]
	s_nop 0
	v_pk_add_f32 v[6:7], v[6:7], v[10:11]
	ds_write2_b64 v77, v[4:5], v[6:7] offset1:195
	v_pk_add_f32 v[4:5], v[28:29], v[10:11]
	s_nop 0
	v_pk_fma_f32 v[2:3], v[4:5], 0.5, v[2:3] op_sel_hi:[1,0,1] neg_lo:[1,0,0] neg_hi:[1,0,0]
	v_pk_add_f32 v[4:5], v[28:29], v[10:11] neg_lo:[0,1] neg_hi:[0,1]
	s_nop 0
	v_pk_mul_f32 v[4:5], v[4:5], s[0:1] op_sel_hi:[1,0]
	s_nop 0
	v_pk_add_f32 v[6:7], v[2:3], v[4:5] op_sel:[0,1] op_sel_hi:[1,0] neg_lo:[0,1] neg_hi:[0,1]
	v_pk_add_f32 v[2:3], v[2:3], v[4:5] op_sel:[0,1] op_sel_hi:[1,0]
	v_mov_b32_e32 v4, v6
	v_mov_b32_e32 v5, v3
	;; [unrolled: 1-line block ×3, first 2 shown]
	ds_write2_b64 v26, v[0:1], v[2:3] offset0:20 offset1:215
	v_pk_fma_f32 v[0:1], v[48:49], v[24:25], v[36:37] op_sel:[0,0,1] op_sel_hi:[1,1,0]
	v_pk_fma_f32 v[2:3], v[48:49], v[24:25], v[36:37] op_sel:[0,0,1] op_sel_hi:[1,1,0] neg_lo:[0,0,1] neg_hi:[0,0,1]
	ds_write2_b64 v27, v[8:9], v[4:5] offset0:10 offset1:205
	v_mov_b32_e32 v1, v3
	v_pk_fma_f32 v[2:3], v[22:23], v[20:21], v[38:39] op_sel:[0,0,1] op_sel_hi:[1,1,0]
	v_pk_fma_f32 v[4:5], v[22:23], v[20:21], v[38:39] op_sel:[0,0,1] op_sel_hi:[1,1,0] neg_lo:[0,0,1] neg_hi:[0,0,1]
	s_nop 0
	v_mov_b32_e32 v3, v5
	v_pk_add_f32 v[4:5], v[14:15], v[0:1]
	s_nop 0
	v_pk_add_f32 v[4:5], v[4:5], v[2:3]
	ds_write_b64 v77, v[4:5] offset:3120
	v_pk_add_f32 v[4:5], v[0:1], v[2:3]
	v_pk_add_f32 v[0:1], v[0:1], v[2:3] neg_lo:[0,1] neg_hi:[0,1]
	v_pk_fma_f32 v[4:5], v[4:5], 0.5, v[14:15] op_sel_hi:[1,0,1] neg_lo:[1,0,0] neg_hi:[1,0,0]
	v_pk_mul_f32 v[0:1], v[0:1], s[0:1] op_sel_hi:[1,0]
	s_nop 0
	v_pk_add_f32 v[2:3], v[4:5], v[0:1] op_sel:[0,1] op_sel_hi:[1,0] neg_lo:[0,1] neg_hi:[0,1]
	v_pk_add_f32 v[0:1], v[4:5], v[0:1] op_sel:[0,1] op_sel_hi:[1,0]
	v_mov_b32_e32 v4, v2
	v_mov_b32_e32 v5, v1
	;; [unrolled: 1-line block ×3, first 2 shown]
	ds_write_b64 v77, v[4:5] offset:8320
	ds_write_b64 v77, v[0:1] offset:13520
	s_and_saveexec_b64 s[6:7], s[2:3]
	s_cbranch_execz .LBB0_21
; %bb.20:
	v_pk_mul_f32 v[0:1], v[16:17], v[84:85] op_sel:[0,1]
	v_pk_mul_f32 v[2:3], v[18:19], v[82:83] op_sel:[0,1]
	v_pk_fma_f32 v[4:5], v[16:17], v[84:85], v[0:1] op_sel:[0,0,1] op_sel_hi:[1,1,0]
	v_pk_fma_f32 v[0:1], v[16:17], v[84:85], v[0:1] op_sel:[0,0,1] op_sel_hi:[1,0,0] neg_lo:[1,0,0] neg_hi:[1,0,0]
	s_nop 0
	v_mov_b32_e32 v5, v1
	v_pk_fma_f32 v[0:1], v[18:19], v[82:83], v[2:3] op_sel:[0,0,1] op_sel_hi:[1,1,0]
	v_pk_fma_f32 v[2:3], v[18:19], v[82:83], v[2:3] op_sel:[0,0,1] op_sel_hi:[1,0,0] neg_lo:[1,0,0] neg_hi:[1,0,0]
	s_nop 0
	v_mov_b32_e32 v1, v3
	v_pk_add_f32 v[2:3], v[12:13], v[4:5]
	s_nop 0
	v_pk_add_f32 v[2:3], v[2:3], v[0:1]
	ds_write_b64 v77, v[2:3] offset:4680
	v_pk_add_f32 v[2:3], v[4:5], v[0:1]
	v_pk_add_f32 v[0:1], v[4:5], v[0:1] neg_lo:[0,1] neg_hi:[0,1]
	v_pk_fma_f32 v[2:3], -0.5, v[2:3], v[12:13] op_sel_hi:[0,1,1]
	v_pk_mul_f32 v[0:1], v[0:1], s[0:1] op_sel_hi:[1,0]
	s_nop 0
	v_pk_add_f32 v[4:5], v[2:3], v[0:1] op_sel:[0,1] op_sel_hi:[1,0] neg_lo:[0,1] neg_hi:[0,1]
	v_pk_add_f32 v[0:1], v[2:3], v[0:1] op_sel:[0,1] op_sel_hi:[1,0]
	v_mov_b32_e32 v2, v4
	v_mov_b32_e32 v3, v1
	;; [unrolled: 1-line block ×3, first 2 shown]
	ds_write_b64 v77, v[2:3] offset:9880
	ds_write_b64 v77, v[0:1] offset:15080
.LBB0_21:
	s_or_b64 exec, exec, s[6:7]
	s_waitcnt lgkmcnt(0)
	s_barrier
	s_and_b64 exec, exec, s[4:5]
	s_cbranch_execz .LBB0_23
; %bb.22:
	global_load_dwordx2 v[8:9], v72, s[12:13]
	global_load_dwordx2 v[10:11], v72, s[12:13] offset:1200
	global_load_dwordx2 v[12:13], v72, s[12:13] offset:2400
	;; [unrolled: 1-line block ×3, first 2 shown]
	v_mov_b32_e32 v73, 0
	s_movk_i32 s2, 0x1000
	v_lshl_add_u64 v[22:23], s[12:13], 0, v[72:73]
	v_add_co_u32_e32 v24, vcc, s2, v22
	v_add_u32_e32 v0, 0x400, v72
	s_nop 0
	v_addc_co_u32_e32 v25, vcc, 0, v23, vcc
	global_load_dwordx2 v[26:27], v[24:25], off offset:704
	v_add_u32_e32 v4, 0xc00, v72
	ds_read_b64 v[20:21], v77
	ds_read2_b64 v[0:3], v0 offset0:22 offset1:172
	ds_read2_b64 v[4:7], v4 offset0:66 offset1:216
	global_load_dwordx2 v[34:35], v[24:25], off offset:1904
	v_mad_u64_u32 v[18:19], s[0:1], s10, v76, 0
	v_mad_u64_u32 v[28:29], s[2:3], s8, v74, 0
	s_movk_i32 s3, 0x2000
	v_mov_b32_e32 v30, v19
	v_mov_b32_e32 v32, v29
	v_mad_u64_u32 v[30:31], s[4:5], s11, v76, v[30:31]
	v_mad_u64_u32 v[32:33], s[4:5], s9, v74, v[32:33]
	v_add_co_u32_e32 v36, vcc, s3, v22
	v_mov_b32_e32 v19, v30
	s_nop 0
	v_addc_co_u32_e32 v37, vcc, 0, v23, vcc
	v_mov_b32_e32 v29, v32
	global_load_dwordx2 v[30:31], v[24:25], off offset:3104
	global_load_dwordx2 v[32:33], v[36:37], off offset:208
	v_mov_b32_e32 v16, s14
	v_mov_b32_e32 v17, s15
	v_lshl_add_u64 v[16:17], v[18:19], 3, v[16:17]
	v_lshl_add_u64 v[16:17], v[28:29], 3, v[16:17]
	s_mov_b32 s0, 0xaa677344
	v_mov_b32_e32 v38, 0x4b0
	s_mov_b32 s1, 0x3f40cdd9
	s_mul_i32 s2, s9, 0x4b0
	v_mad_u64_u32 v[18:19], s[4:5], s8, v38, v[16:17]
	v_add_u32_e32 v19, s2, v19
	v_mad_u64_u32 v[24:25], s[4:5], s8, v38, v[18:19]
	v_add_u32_e32 v25, s2, v25
	s_movk_i32 s3, 0x3000
	s_waitcnt vmcnt(7) lgkmcnt(2)
	v_mul_f32_e32 v28, v21, v9
	v_mul_f32_e32 v9, v20, v9
	s_waitcnt vmcnt(6) lgkmcnt(1)
	v_mul_f32_e32 v29, v1, v11
	v_mul_f32_e32 v11, v0, v11
	s_waitcnt vmcnt(5)
	v_mul_f32_e32 v39, v3, v13
	v_mul_f32_e32 v13, v2, v13
	v_fmac_f32_e32 v28, v20, v8
	v_fma_f32 v8, v8, v21, -v9
	v_fmac_f32_e32 v29, v0, v10
	v_fma_f32 v10, v10, v1, -v11
	;; [unrolled: 2-line block ×3, first 2 shown]
	v_cvt_f64_f32_e32 v[0:1], v28
	v_cvt_f64_f32_e32 v[2:3], v8
	v_cvt_f64_f32_e32 v[8:9], v29
	v_cvt_f64_f32_e32 v[10:11], v10
	v_cvt_f64_f32_e32 v[12:13], v39
	v_cvt_f64_f32_e32 v[20:21], v20
	v_mul_f64 v[0:1], v[0:1], s[0:1]
	v_mul_f64 v[2:3], v[2:3], s[0:1]
	;; [unrolled: 1-line block ×6, first 2 shown]
	v_cvt_f32_f64_e32 v0, v[0:1]
	v_cvt_f32_f64_e32 v1, v[2:3]
	;; [unrolled: 1-line block ×6, first 2 shown]
	global_store_dwordx2 v[16:17], v[0:1], off
	global_store_dwordx2 v[18:19], v[2:3], off
	;; [unrolled: 1-line block ×3, first 2 shown]
	global_load_dwordx2 v[8:9], v[36:37], off offset:1408
	s_waitcnt vmcnt(8) lgkmcnt(0)
	v_mul_f32_e32 v40, v5, v15
	global_load_dwordx2 v[10:11], v[36:37], off offset:2608
	v_fmac_f32_e32 v40, v4, v14
	v_cvt_f64_f32_e32 v[0:1], v40
	v_mul_f64 v[0:1], v[0:1], s[0:1]
	v_cvt_f32_f64_e32 v0, v[0:1]
	v_mul_f32_e32 v1, v4, v15
	v_fma_f32 v1, v14, v5, -v1
	v_cvt_f64_f32_e32 v[2:3], v1
	v_mul_f64 v[2:3], v[2:3], s[0:1]
	v_mad_u64_u32 v[4:5], s[4:5], s8, v38, v[24:25]
	v_cvt_f32_f64_e32 v1, v[2:3]
	v_add_u32_e32 v5, s2, v5
	global_store_dwordx2 v[4:5], v[0:1], off
	s_waitcnt vmcnt(9)
	v_mul_f32_e32 v0, v7, v27
	v_fmac_f32_e32 v0, v6, v26
	v_cvt_f64_f32_e32 v[0:1], v0
	v_mul_f64 v[0:1], v[0:1], s[0:1]
	v_cvt_f32_f64_e32 v12, v[0:1]
	v_mul_f32_e32 v0, v6, v27
	v_fma_f32 v0, v26, v7, -v0
	global_load_dwordx2 v[6:7], v[36:37], off offset:3808
	v_add_co_u32_e32 v14, vcc, s3, v22
	v_cvt_f64_f32_e32 v[0:1], v0
	s_nop 0
	v_addc_co_u32_e32 v15, vcc, 0, v23, vcc
	global_load_dwordx2 v[16:17], v[14:15], off offset:912
	v_mul_f64 v[0:1], v[0:1], s[0:1]
	v_cvt_f32_f64_e32 v13, v[0:1]
	v_add_u32_e32 v0, 0x1600, v72
	ds_read2_b64 v[0:3], v0 offset0:46 offset1:196
	v_mad_u64_u32 v[4:5], s[4:5], s8, v38, v[4:5]
	v_add_u32_e32 v5, s2, v5
	global_store_dwordx2 v[4:5], v[12:13], off
	s_waitcnt vmcnt(11) lgkmcnt(0)
	v_mul_f32_e32 v12, v1, v35
	v_fmac_f32_e32 v12, v0, v34
	v_mul_f32_e32 v0, v0, v35
	v_fma_f32 v0, v34, v1, -v0
	v_cvt_f64_f32_e32 v[12:13], v12
	v_cvt_f64_f32_e32 v[0:1], v0
	v_mul_f64 v[12:13], v[12:13], s[0:1]
	v_mul_f64 v[0:1], v[0:1], s[0:1]
	v_cvt_f32_f64_e32 v12, v[12:13]
	v_cvt_f32_f64_e32 v13, v[0:1]
	s_waitcnt vmcnt(10)
	v_mul_f32_e32 v0, v3, v31
	v_fmac_f32_e32 v0, v2, v30
	v_mad_u64_u32 v[4:5], s[4:5], s8, v38, v[4:5]
	v_cvt_f64_f32_e32 v[0:1], v0
	v_add_u32_e32 v5, s2, v5
	v_mul_f64 v[0:1], v[0:1], s[0:1]
	global_store_dwordx2 v[4:5], v[12:13], off
	v_cvt_f32_f64_e32 v12, v[0:1]
	v_mul_f32_e32 v0, v2, v31
	v_fma_f32 v0, v30, v3, -v0
	v_cvt_f64_f32_e32 v[0:1], v0
	v_mul_f64 v[0:1], v[0:1], s[0:1]
	v_cvt_f32_f64_e32 v13, v[0:1]
	v_add_u32_e32 v0, 0x2000, v72
	ds_read2_b64 v[0:3], v0 offset0:26 offset1:176
	v_mad_u64_u32 v[4:5], s[4:5], s8, v38, v[4:5]
	v_add_u32_e32 v5, s2, v5
	global_store_dwordx2 v[4:5], v[12:13], off
	s_waitcnt vmcnt(11) lgkmcnt(0)
	v_mul_f32_e32 v12, v1, v33
	v_fmac_f32_e32 v12, v0, v32
	v_mul_f32_e32 v0, v0, v33
	v_fma_f32 v0, v32, v1, -v0
	v_cvt_f64_f32_e32 v[12:13], v12
	v_cvt_f64_f32_e32 v[0:1], v0
	v_mul_f64 v[12:13], v[12:13], s[0:1]
	v_mul_f64 v[0:1], v[0:1], s[0:1]
	v_cvt_f32_f64_e32 v12, v[12:13]
	v_cvt_f32_f64_e32 v13, v[0:1]
	v_mad_u64_u32 v[4:5], s[4:5], s8, v38, v[4:5]
	s_waitcnt vmcnt(7)
	v_mul_f32_e32 v0, v3, v9
	v_fmac_f32_e32 v0, v2, v8
	v_cvt_f64_f32_e32 v[0:1], v0
	v_add_u32_e32 v5, s2, v5
	v_mul_f64 v[0:1], v[0:1], s[0:1]
	global_store_dwordx2 v[4:5], v[12:13], off
	v_cvt_f32_f64_e32 v12, v[0:1]
	v_mul_f32_e32 v0, v2, v9
	v_fma_f32 v0, v8, v3, -v0
	v_cvt_f64_f32_e32 v[0:1], v0
	v_mul_f64 v[0:1], v[0:1], s[0:1]
	v_cvt_f32_f64_e32 v13, v[0:1]
	v_add_u32_e32 v0, 0x2800, v72
	ds_read2_b64 v[0:3], v0 offset0:70 offset1:220
	v_mad_u64_u32 v[4:5], s[4:5], s8, v38, v[4:5]
	v_add_u32_e32 v5, s2, v5
	global_store_dwordx2 v[4:5], v[12:13], off
	s_waitcnt vmcnt(8) lgkmcnt(0)
	v_mul_f32_e32 v8, v1, v11
	v_fmac_f32_e32 v8, v0, v10
	v_mul_f32_e32 v0, v0, v11
	v_fma_f32 v0, v10, v1, -v0
	v_cvt_f64_f32_e32 v[8:9], v8
	v_cvt_f64_f32_e32 v[0:1], v0
	v_mul_f64 v[8:9], v[8:9], s[0:1]
	v_mul_f64 v[0:1], v[0:1], s[0:1]
	v_cvt_f32_f64_e32 v8, v[8:9]
	v_cvt_f32_f64_e32 v9, v[0:1]
	s_waitcnt vmcnt(6)
	v_mul_f32_e32 v0, v3, v7
	v_fmac_f32_e32 v0, v2, v6
	v_mad_u64_u32 v[4:5], s[4:5], s8, v38, v[4:5]
	v_cvt_f64_f32_e32 v[0:1], v0
	v_add_u32_e32 v5, s2, v5
	v_mul_f64 v[0:1], v[0:1], s[0:1]
	global_store_dwordx2 v[4:5], v[8:9], off
	v_cvt_f32_f64_e32 v8, v[0:1]
	v_mul_f32_e32 v0, v2, v7
	v_fma_f32 v0, v6, v3, -v0
	v_cvt_f64_f32_e32 v[0:1], v0
	v_mul_f64 v[0:1], v[0:1], s[0:1]
	v_cvt_f32_f64_e32 v9, v[0:1]
	v_add_u32_e32 v0, 0x3200, v72
	ds_read2_b64 v[0:3], v0 offset0:50 offset1:200
	v_mad_u64_u32 v[4:5], s[4:5], s8, v38, v[4:5]
	v_add_u32_e32 v5, s2, v5
	global_store_dwordx2 v[4:5], v[8:9], off
	s_waitcnt vmcnt(7) lgkmcnt(0)
	v_mul_f32_e32 v6, v1, v17
	v_fmac_f32_e32 v6, v0, v16
	v_mul_f32_e32 v0, v0, v17
	v_fma_f32 v0, v16, v1, -v0
	v_cvt_f64_f32_e32 v[6:7], v6
	v_cvt_f64_f32_e32 v[0:1], v0
	v_mul_f64 v[6:7], v[6:7], s[0:1]
	v_mul_f64 v[0:1], v[0:1], s[0:1]
	v_cvt_f32_f64_e32 v6, v[6:7]
	v_cvt_f32_f64_e32 v7, v[0:1]
	v_mad_u64_u32 v[0:1], s[4:5], s8, v38, v[4:5]
	v_add_u32_e32 v1, s2, v1
	global_store_dwordx2 v[0:1], v[6:7], off
	global_load_dwordx2 v[4:5], v[14:15], off offset:2112
	s_waitcnt vmcnt(0)
	v_mul_f32_e32 v6, v3, v5
	v_fmac_f32_e32 v6, v2, v4
	v_mul_f32_e32 v2, v2, v5
	v_fma_f32 v2, v4, v3, -v2
	v_cvt_f64_f32_e32 v[6:7], v6
	v_cvt_f64_f32_e32 v[2:3], v2
	v_mul_f64 v[6:7], v[6:7], s[0:1]
	v_mul_f64 v[2:3], v[2:3], s[0:1]
	v_mad_u64_u32 v[0:1], s[0:1], s8, v38, v[0:1]
	v_cvt_f32_f64_e32 v6, v[6:7]
	v_cvt_f32_f64_e32 v7, v[2:3]
	v_add_u32_e32 v1, s2, v1
	global_store_dwordx2 v[0:1], v[6:7], off
.LBB0_23:
	s_endpgm
	.section	.rodata,"a",@progbits
	.p2align	6, 0x0
	.amdhsa_kernel bluestein_single_fwd_len1950_dim1_sp_op_CI_CI
		.amdhsa_group_segment_fixed_size 15600
		.amdhsa_private_segment_fixed_size 0
		.amdhsa_kernarg_size 104
		.amdhsa_user_sgpr_count 2
		.amdhsa_user_sgpr_dispatch_ptr 0
		.amdhsa_user_sgpr_queue_ptr 0
		.amdhsa_user_sgpr_kernarg_segment_ptr 1
		.amdhsa_user_sgpr_dispatch_id 0
		.amdhsa_user_sgpr_kernarg_preload_length 0
		.amdhsa_user_sgpr_kernarg_preload_offset 0
		.amdhsa_user_sgpr_private_segment_size 0
		.amdhsa_uses_dynamic_stack 0
		.amdhsa_enable_private_segment 0
		.amdhsa_system_sgpr_workgroup_id_x 1
		.amdhsa_system_sgpr_workgroup_id_y 0
		.amdhsa_system_sgpr_workgroup_id_z 0
		.amdhsa_system_sgpr_workgroup_info 0
		.amdhsa_system_vgpr_workitem_id 0
		.amdhsa_next_free_vgpr 226
		.amdhsa_next_free_sgpr 54
		.amdhsa_accum_offset 228
		.amdhsa_reserve_vcc 1
		.amdhsa_float_round_mode_32 0
		.amdhsa_float_round_mode_16_64 0
		.amdhsa_float_denorm_mode_32 3
		.amdhsa_float_denorm_mode_16_64 3
		.amdhsa_dx10_clamp 1
		.amdhsa_ieee_mode 1
		.amdhsa_fp16_overflow 0
		.amdhsa_tg_split 0
		.amdhsa_exception_fp_ieee_invalid_op 0
		.amdhsa_exception_fp_denorm_src 0
		.amdhsa_exception_fp_ieee_div_zero 0
		.amdhsa_exception_fp_ieee_overflow 0
		.amdhsa_exception_fp_ieee_underflow 0
		.amdhsa_exception_fp_ieee_inexact 0
		.amdhsa_exception_int_div_zero 0
	.end_amdhsa_kernel
	.text
.Lfunc_end0:
	.size	bluestein_single_fwd_len1950_dim1_sp_op_CI_CI, .Lfunc_end0-bluestein_single_fwd_len1950_dim1_sp_op_CI_CI
                                        ; -- End function
	.section	.AMDGPU.csdata,"",@progbits
; Kernel info:
; codeLenInByte = 14960
; NumSgprs: 60
; NumVgprs: 226
; NumAgprs: 0
; TotalNumVgprs: 226
; ScratchSize: 0
; MemoryBound: 0
; FloatMode: 240
; IeeeMode: 1
; LDSByteSize: 15600 bytes/workgroup (compile time only)
; SGPRBlocks: 7
; VGPRBlocks: 28
; NumSGPRsForWavesPerEU: 60
; NumVGPRsForWavesPerEU: 226
; AccumOffset: 228
; Occupancy: 2
; WaveLimiterHint : 1
; COMPUTE_PGM_RSRC2:SCRATCH_EN: 0
; COMPUTE_PGM_RSRC2:USER_SGPR: 2
; COMPUTE_PGM_RSRC2:TRAP_HANDLER: 0
; COMPUTE_PGM_RSRC2:TGID_X_EN: 1
; COMPUTE_PGM_RSRC2:TGID_Y_EN: 0
; COMPUTE_PGM_RSRC2:TGID_Z_EN: 0
; COMPUTE_PGM_RSRC2:TIDIG_COMP_CNT: 0
; COMPUTE_PGM_RSRC3_GFX90A:ACCUM_OFFSET: 56
; COMPUTE_PGM_RSRC3_GFX90A:TG_SPLIT: 0
	.text
	.p2alignl 6, 3212836864
	.fill 256, 4, 3212836864
	.type	__hip_cuid_3ffa6b3f5dc86e02,@object ; @__hip_cuid_3ffa6b3f5dc86e02
	.section	.bss,"aw",@nobits
	.globl	__hip_cuid_3ffa6b3f5dc86e02
__hip_cuid_3ffa6b3f5dc86e02:
	.byte	0                               ; 0x0
	.size	__hip_cuid_3ffa6b3f5dc86e02, 1

	.ident	"AMD clang version 19.0.0git (https://github.com/RadeonOpenCompute/llvm-project roc-6.4.0 25133 c7fe45cf4b819c5991fe208aaa96edf142730f1d)"
	.section	".note.GNU-stack","",@progbits
	.addrsig
	.addrsig_sym __hip_cuid_3ffa6b3f5dc86e02
	.amdgpu_metadata
---
amdhsa.kernels:
  - .agpr_count:     0
    .args:
      - .actual_access:  read_only
        .address_space:  global
        .offset:         0
        .size:           8
        .value_kind:     global_buffer
      - .actual_access:  read_only
        .address_space:  global
        .offset:         8
        .size:           8
        .value_kind:     global_buffer
      - .actual_access:  read_only
        .address_space:  global
        .offset:         16
        .size:           8
        .value_kind:     global_buffer
      - .actual_access:  read_only
        .address_space:  global
        .offset:         24
        .size:           8
        .value_kind:     global_buffer
      - .actual_access:  read_only
        .address_space:  global
        .offset:         32
        .size:           8
        .value_kind:     global_buffer
      - .offset:         40
        .size:           8
        .value_kind:     by_value
      - .address_space:  global
        .offset:         48
        .size:           8
        .value_kind:     global_buffer
      - .address_space:  global
        .offset:         56
        .size:           8
        .value_kind:     global_buffer
      - .address_space:  global
        .offset:         64
        .size:           8
        .value_kind:     global_buffer
      - .address_space:  global
        .offset:         72
        .size:           8
        .value_kind:     global_buffer
      - .offset:         80
        .size:           4
        .value_kind:     by_value
      - .address_space:  global
        .offset:         88
        .size:           8
        .value_kind:     global_buffer
      - .address_space:  global
        .offset:         96
        .size:           8
        .value_kind:     global_buffer
    .group_segment_fixed_size: 15600
    .kernarg_segment_align: 8
    .kernarg_segment_size: 104
    .language:       OpenCL C
    .language_version:
      - 2
      - 0
    .max_flat_workgroup_size: 195
    .name:           bluestein_single_fwd_len1950_dim1_sp_op_CI_CI
    .private_segment_fixed_size: 0
    .sgpr_count:     60
    .sgpr_spill_count: 0
    .symbol:         bluestein_single_fwd_len1950_dim1_sp_op_CI_CI.kd
    .uniform_work_group_size: 1
    .uses_dynamic_stack: false
    .vgpr_count:     226
    .vgpr_spill_count: 0
    .wavefront_size: 64
amdhsa.target:   amdgcn-amd-amdhsa--gfx950
amdhsa.version:
  - 1
  - 2
...

	.end_amdgpu_metadata
